;; amdgpu-corpus repo=ROCm/rocFFT kind=compiled arch=gfx950 opt=O3
	.text
	.amdgcn_target "amdgcn-amd-amdhsa--gfx950"
	.amdhsa_code_object_version 6
	.protected	bluestein_single_fwd_len1755_dim1_sp_op_CI_CI ; -- Begin function bluestein_single_fwd_len1755_dim1_sp_op_CI_CI
	.globl	bluestein_single_fwd_len1755_dim1_sp_op_CI_CI
	.p2align	8
	.type	bluestein_single_fwd_len1755_dim1_sp_op_CI_CI,@function
bluestein_single_fwd_len1755_dim1_sp_op_CI_CI: ; @bluestein_single_fwd_len1755_dim1_sp_op_CI_CI
; %bb.0:
	s_load_dwordx4 s[4:7], s[0:1], 0x28
	v_mul_u32_u24_e32 v1, 0x231, v0
	v_mov_b32_e32 v131, 0
	v_add_u32_sdwa v6, s2, v1 dst_sel:DWORD dst_unused:UNUSED_PAD src0_sel:DWORD src1_sel:WORD_1
	v_mov_b32_e32 v7, v131
	s_waitcnt lgkmcnt(0)
	v_cmp_gt_u64_e32 vcc, s[4:5], v[6:7]
	s_and_saveexec_b64 s[2:3], vcc
	s_cbranch_execz .LBB0_15
; %bb.1:
	s_load_dwordx4 s[12:15], s[0:1], 0x18
	s_load_dwordx2 s[16:17], s[0:1], 0x0
	s_movk_i32 s2, 0x75
	v_mul_lo_u16_sdwa v1, v1, s2 dst_sel:DWORD dst_unused:UNUSED_PAD src0_sel:WORD_1 src1_sel:DWORD
	v_sub_u16_e32 v130, v0, v1
	s_waitcnt lgkmcnt(0)
	s_load_dwordx4 s[8:11], s[12:13], 0x0
	v_accvgpr_write_b32 a22, v6
	v_mov_b32_e32 v2, s6
	v_mov_b32_e32 v3, s7
	v_lshlrev_b32_e32 v128, 3, v130
	s_waitcnt lgkmcnt(0)
	v_mad_u64_u32 v[0:1], s[2:3], s10, v6, 0
	v_mov_b32_e32 v4, v1
	v_mad_u64_u32 v[4:5], s[2:3], s11, v6, v[4:5]
	v_mov_b32_e32 v1, v4
	v_mad_u64_u32 v[4:5], s[2:3], s8, v130, 0
	v_mov_b32_e32 v6, v5
	v_mad_u64_u32 v[6:7], s[2:3], s9, v130, v[6:7]
	s_mul_i32 s2, s9, 0x87
	s_mul_hi_u32 s3, s8, 0x87
	v_mov_b32_e32 v5, v6
	v_lshl_add_u64 v[0:1], v[0:1], 3, v[2:3]
	s_add_i32 s3, s3, s2
	s_mul_i32 s2, s8, 0x87
	v_lshl_add_u64 v[0:1], v[4:5], 3, v[0:1]
	s_lshl_b64 s[10:11], s[2:3], 3
	global_load_dwordx2 v[8:9], v[0:1], off
	v_lshl_add_u64 v[0:1], v[0:1], 0, s[10:11]
	v_mov_b32_e32 v129, v131
	global_load_dwordx2 v[60:61], v128, s[16:17]
	global_load_dwordx2 v[10:11], v[0:1], off
	global_load_dwordx2 v[58:59], v128, s[16:17] offset:1080
	v_lshl_add_u64 v[0:1], v[0:1], 0, s[10:11]
	v_lshl_add_u64 v[250:251], s[16:17], 0, v[128:129]
	global_load_dwordx2 v[56:57], v128, s[16:17] offset:2160
	global_load_dwordx2 v[12:13], v[0:1], off
	v_lshl_add_u64 v[0:1], v[0:1], 0, s[10:11]
	s_movk_i32 s2, 0x1000
	global_load_dwordx2 v[14:15], v[0:1], off
	global_load_dwordx2 v[54:55], v128, s[16:17] offset:3240
	v_lshl_add_u64 v[2:3], v[0:1], 0, s[10:11]
	v_add_co_u32_e32 v0, vcc, s2, v250
	global_load_dwordx2 v[16:17], v[2:3], off
	s_nop 0
	v_addc_co_u32_e32 v1, vcc, 0, v251, vcc
	global_load_dwordx2 v[52:53], v[0:1], off offset:224
	v_lshl_add_u64 v[2:3], v[2:3], 0, s[10:11]
	global_load_dwordx2 v[18:19], v[2:3], off
	global_load_dwordx2 v[50:51], v[0:1], off offset:1304
	v_lshl_add_u64 v[2:3], v[2:3], 0, s[10:11]
	global_load_dwordx2 v[20:21], v[2:3], off
	v_lshl_add_u64 v[2:3], v[2:3], 0, s[10:11]
	s_movk_i32 s2, 0x2000
	global_load_dwordx2 v[48:49], v[0:1], off offset:2384
	global_load_dwordx2 v[22:23], v[2:3], off
	global_load_dwordx2 v[46:47], v[0:1], off offset:3464
	v_lshl_add_u64 v[4:5], v[2:3], 0, s[10:11]
	v_add_co_u32_e32 v2, vcc, s2, v250
	global_load_dwordx2 v[24:25], v[4:5], off
	s_nop 0
	v_addc_co_u32_e32 v3, vcc, 0, v251, vcc
	global_load_dwordx2 v[44:45], v[2:3], off offset:448
	v_lshl_add_u64 v[4:5], v[4:5], 0, s[10:11]
	global_load_dwordx2 v[26:27], v[4:5], off
	global_load_dwordx2 v[40:41], v[2:3], off offset:1528
	v_lshl_add_u64 v[4:5], v[4:5], 0, s[10:11]
	global_load_dwordx2 v[28:29], v[4:5], off
	v_lshl_add_u64 v[4:5], v[4:5], 0, s[10:11]
	s_movk_i32 s2, 0x3000
	global_load_dwordx2 v[30:31], v[4:5], off
	global_load_dwordx2 v[42:43], v[2:3], off offset:2608
	global_load_dwordx2 v[38:39], v[2:3], off offset:3688
	v_lshl_add_u64 v[6:7], v[4:5], 0, s[10:11]
	v_add_co_u32_e32 v4, vcc, s2, v250
	s_waitcnt vmcnt(22)
	v_accvgpr_write_b32 a30, v60
	v_addc_co_u32_e32 v5, vcc, 0, v251, vcc
	global_load_dwordx2 v[36:37], v[4:5], off offset:672
	global_load_dwordx2 v[32:33], v[6:7], off
	v_mul_f32_e32 v34, v9, v61
	v_mul_f32_e32 v35, v8, v61
	v_fmac_f32_e32 v34, v8, v60
	v_fma_f32 v35, v9, v60, -v35
	s_waitcnt vmcnt(22)
	v_mul_f32_e32 v8, v11, v59
	v_mul_f32_e32 v9, v10, v59
	v_fmac_f32_e32 v8, v10, v58
	v_fma_f32 v9, v11, v58, -v9
	s_waitcnt vmcnt(20)
	v_mul_f32_e32 v10, v13, v57
	s_load_dwordx2 s[2:3], s[0:1], 0x38
	s_load_dwordx4 s[4:7], s[14:15], 0x0
	v_mul_f32_e32 v11, v12, v57
	ds_write2_b64 v128, v[34:35], v[8:9] offset1:135
	v_fmac_f32_e32 v10, v12, v56
	s_waitcnt vmcnt(18)
	v_mul_f32_e32 v12, v15, v55
	v_mul_f32_e32 v8, v14, v55
	v_fma_f32 v11, v13, v56, -v11
	v_fmac_f32_e32 v12, v14, v54
	v_fma_f32 v13, v15, v54, -v8
	v_add_u32_e32 v8, 0x800, v128
	s_waitcnt vmcnt(16)
	v_mul_f32_e32 v9, v16, v53
	ds_write2_b64 v8, v[10:11], v[12:13] offset0:14 offset1:149
	v_mul_f32_e32 v10, v17, v53
	v_fma_f32 v11, v17, v52, -v9
	s_waitcnt vmcnt(14)
	v_mul_f32_e32 v12, v19, v51
	v_mul_f32_e32 v9, v18, v51
	v_fmac_f32_e32 v10, v16, v52
	v_fmac_f32_e32 v12, v18, v50
	v_fma_f32 v13, v19, v50, -v9
	v_add_u32_e32 v9, 0x1000, v128
	ds_write2_b64 v9, v[10:11], v[12:13] offset0:28 offset1:163
	s_waitcnt vmcnt(12)
	v_mul_f32_e32 v10, v20, v49
	v_mul_f32_e32 v12, v21, v49
	v_fma_f32 v13, v21, v48, -v10
	s_waitcnt vmcnt(10)
	v_mul_f32_e32 v14, v23, v47
	v_mul_f32_e32 v10, v22, v47
	v_fmac_f32_e32 v12, v20, v48
	v_fmac_f32_e32 v14, v22, v46
	v_fma_f32 v15, v23, v46, -v10
	v_add_u32_e32 v10, 0x1800, v128
	s_waitcnt vmcnt(8)
	v_mul_f32_e32 v11, v24, v45
	ds_write2_b64 v10, v[12:13], v[14:15] offset0:42 offset1:177
	v_mul_f32_e32 v12, v25, v45
	v_fma_f32 v13, v25, v44, -v11
	s_waitcnt vmcnt(6)
	v_mul_f32_e32 v14, v27, v41
	v_mul_f32_e32 v11, v26, v41
	v_fmac_f32_e32 v12, v24, v44
	v_fmac_f32_e32 v14, v26, v40
	v_fma_f32 v15, v27, v40, -v11
	v_add_u32_e32 v11, 0x2000, v128
	ds_write2_b64 v11, v[12:13], v[14:15] offset0:56 offset1:191
	s_waitcnt vmcnt(3)
	v_mul_f32_e32 v12, v28, v43
	v_mul_f32_e32 v14, v29, v43
	v_fma_f32 v15, v29, v42, -v12
	s_waitcnt vmcnt(2)
	v_mul_f32_e32 v16, v31, v39
	v_mul_f32_e32 v12, v30, v39
	v_fmac_f32_e32 v14, v28, v42
	v_fmac_f32_e32 v16, v30, v38
	v_fma_f32 v17, v31, v38, -v12
	v_add_u32_e32 v12, 0x2800, v128
	v_accvgpr_write_b32 a28, v58
	v_accvgpr_write_b32 a26, v56
	;; [unrolled: 1-line block ×11, first 2 shown]
	ds_write2_b64 v12, v[14:15], v[16:17] offset0:70 offset1:205
	v_accvgpr_write_b32 a31, v61
	v_accvgpr_write_b32 a29, v59
	;; [unrolled: 1-line block ×7, first 2 shown]
	s_waitcnt vmcnt(1)
	v_accvgpr_write_b32 a2, v36
	s_waitcnt vmcnt(0)
	v_mul_f32_e32 v14, v33, v37
	v_mul_f32_e32 v13, v32, v37
	v_accvgpr_write_b32 a15, v47
	v_accvgpr_write_b32 a11, v45
	;; [unrolled: 1-line block ×5, first 2 shown]
	v_fmac_f32_e32 v14, v32, v36
	v_accvgpr_write_b32 a3, v37
	v_fma_f32 v15, v33, v36, -v13
	v_cmp_gt_u16_e32 vcc, 18, v130
	ds_write_b64 v128, v[14:15] offset:12960
	s_and_saveexec_b64 s[12:13], vcc
	s_cbranch_execz .LBB0_3
; %bb.2:
	v_mov_b32_e32 v13, 0xffffd108
	s_mulk_i32 s9, 0xd108
	v_mad_u64_u32 v[6:7], s[14:15], s8, v13, v[6:7]
	s_sub_i32 s8, s9, s8
	v_add_u32_e32 v7, s8, v7
	global_load_dwordx2 v[14:15], v[6:7], off
	global_load_dwordx2 v[16:17], v[250:251], off offset:936
	v_lshl_add_u64 v[6:7], v[6:7], 0, s[10:11]
	global_load_dwordx2 v[18:19], v[6:7], off
	global_load_dwordx2 v[20:21], v[250:251], off offset:2016
	v_lshl_add_u64 v[6:7], v[6:7], 0, s[10:11]
	global_load_dwordx2 v[22:23], v[6:7], off
	global_load_dwordx2 v[24:25], v[250:251], off offset:3096
	global_load_dwordx2 v[26:27], v[0:1], off offset:80
	v_lshl_add_u64 v[6:7], v[6:7], 0, s[10:11]
	global_load_dwordx2 v[28:29], v[6:7], off
	v_lshl_add_u64 v[6:7], v[6:7], 0, s[10:11]
	global_load_dwordx2 v[30:31], v[6:7], off
	global_load_dwordx2 v[32:33], v[0:1], off offset:1160
	v_lshl_add_u64 v[6:7], v[6:7], 0, s[10:11]
	global_load_dwordx2 v[34:35], v[6:7], off
	global_load_dwordx2 v[36:37], v[0:1], off offset:2240
	;; [unrolled: 3-line block ×3, first 2 shown]
	global_load_dwordx2 v[42:43], v[2:3], off offset:304
	v_lshl_add_u64 v[0:1], v[6:7], 0, s[10:11]
	global_load_dwordx2 v[6:7], v[0:1], off
	v_lshl_add_u64 v[0:1], v[0:1], 0, s[10:11]
	global_load_dwordx2 v[44:45], v[0:1], off
	global_load_dwordx2 v[46:47], v[2:3], off offset:1384
	v_lshl_add_u64 v[0:1], v[0:1], 0, s[10:11]
	global_load_dwordx2 v[48:49], v[0:1], off
	global_load_dwordx2 v[50:51], v[2:3], off offset:2464
	;; [unrolled: 3-line block ×3, first 2 shown]
	global_load_dwordx2 v[56:57], v[4:5], off offset:528
	v_lshl_add_u64 v[0:1], v[0:1], 0, s[10:11]
	global_load_dwordx2 v[2:3], v[0:1], off
	global_load_dwordx2 v[58:59], v[4:5], off offset:1608
	v_lshl_add_u64 v[0:1], v[0:1], 0, s[10:11]
	global_load_dwordx2 v[0:1], v[0:1], off
	v_add_u32_e32 v13, 0xc00, v128
	v_add_u32_e32 v60, 0x1400, v128
	;; [unrolled: 1-line block ×4, first 2 shown]
	s_waitcnt vmcnt(24)
	v_mul_f32_e32 v4, v15, v17
	v_mul_f32_e32 v5, v14, v17
	v_fmac_f32_e32 v4, v14, v16
	v_fma_f32 v5, v15, v16, -v5
	s_waitcnt vmcnt(22)
	v_mul_f32_e32 v14, v19, v21
	v_mul_f32_e32 v15, v18, v21
	v_fmac_f32_e32 v14, v18, v20
	v_fma_f32 v15, v19, v20, -v15
	s_waitcnt vmcnt(20)
	v_mul_f32_e32 v16, v23, v25
	v_mul_f32_e32 v17, v22, v25
	ds_write2_b64 v128, v[4:5], v[14:15] offset0:117 offset1:252
	s_waitcnt vmcnt(18)
	v_mul_f32_e32 v4, v29, v27
	v_mul_f32_e32 v5, v28, v27
	v_fmac_f32_e32 v16, v22, v24
	v_fma_f32 v17, v23, v24, -v17
	v_fmac_f32_e32 v4, v28, v26
	v_fma_f32 v5, v29, v26, -v5
	s_waitcnt vmcnt(16)
	v_mul_f32_e32 v14, v31, v33
	v_mul_f32_e32 v15, v30, v33
	ds_write2_b64 v13, v[16:17], v[4:5] offset0:3 offset1:138
	s_waitcnt vmcnt(14)
	v_mul_f32_e32 v4, v35, v37
	v_mul_f32_e32 v5, v34, v37
	v_fmac_f32_e32 v14, v30, v32
	v_fma_f32 v15, v31, v32, -v15
	;; [unrolled: 11-line block ×4, first 2 shown]
	v_fmac_f32_e32 v4, v48, v50
	v_fma_f32 v5, v49, v50, -v5
	ds_write2_b64 v62, v[6:7], v[4:5] offset0:45 offset1:180
	s_waitcnt vmcnt(4)
	v_mul_f32_e32 v4, v52, v55
	v_fma_f32 v15, v53, v54, -v4
	s_waitcnt vmcnt(2)
	v_mul_f32_e32 v4, v3, v57
	v_mul_f32_e32 v14, v53, v55
	v_fmac_f32_e32 v4, v2, v56
	v_mul_f32_e32 v2, v2, v57
	v_fmac_f32_e32 v14, v52, v54
	v_fma_f32 v5, v3, v56, -v2
	v_add_u32_e32 v2, 0x2c00, v128
	ds_write2_b64 v2, v[14:15], v[4:5] offset0:59 offset1:194
	s_waitcnt vmcnt(0)
	v_mul_f32_e32 v2, v1, v59
	v_fmac_f32_e32 v2, v0, v58
	v_mul_f32_e32 v0, v0, v59
	v_fma_f32 v3, v1, v58, -v0
	ds_write_b64 v128, v[2:3] offset:13896
.LBB0_3:
	s_or_b64 exec, exec, s[12:13]
	s_waitcnt lgkmcnt(0)
	s_barrier
	ds_read2_b64 v[44:47], v128 offset1:135
	ds_read2_b64 v[52:55], v8 offset0:14 offset1:149
	ds_read2_b64 v[64:67], v9 offset0:28 offset1:163
	;; [unrolled: 1-line block ×5, first 2 shown]
	ds_read_b64 v[70:71], v128 offset:12960
	s_load_dwordx2 s[0:1], s[0:1], 0x8
	v_mov_b64_e32 v[20:21], 0
                                        ; implicit-def: $vgpr26
                                        ; implicit-def: $vgpr32
                                        ; implicit-def: $vgpr30
                                        ; implicit-def: $vgpr40
                                        ; implicit-def: $vgpr38
                                        ; implicit-def: $vgpr68
	s_and_saveexec_b64 s[8:9], vcc
	s_cbranch_execz .LBB0_5
; %bb.4:
	v_add_u32_e32 v0, 0xc00, v128
	ds_read2_b64 v[36:39], v0 offset0:3 offset1:138
	v_add_u32_e32 v0, 0x1400, v128
	ds_read2_b64 v[28:31], v0 offset0:17 offset1:152
	;; [unrolled: 2-line block ×5, first 2 shown]
	ds_read2_b64 v[40:43], v0 offset0:59 offset1:194
	ds_read_b64 v[68:69], v128 offset:13896
.LBB0_5:
	s_or_b64 exec, exec, s[8:9]
	s_waitcnt lgkmcnt(0)
	v_pk_add_f32 v[86:87], v[22:23], v[68:69] neg_lo:[0,1] neg_hi:[0,1]
	s_mov_b32 s8, 0xbf52af12
	v_pk_add_f32 v[74:75], v[68:69], v[22:23]
	v_pk_add_f32 v[84:85], v[36:37], v[42:43] neg_lo:[0,1] neg_hi:[0,1]
	s_mov_b32 s24, 0x3f116cb1
	v_pk_mul_f32 v[0:1], v[86:87], s[8:9] op_sel_hi:[1,0]
	s_mov_b32 s10, 0xbf6f5d39
	v_pk_add_f32 v[72:73], v[42:43], v[36:37]
	v_pk_add_f32 v[82:83], v[38:39], v[40:41] neg_lo:[0,1] neg_hi:[0,1]
	v_pk_fma_f32 v[2:3], v[74:75], s[24:25], v[0:1] op_sel:[0,0,1] op_sel_hi:[1,0,0]
	v_pk_fma_f32 v[0:1], v[74:75], s[24:25], v[0:1] op_sel:[0,0,1] op_sel_hi:[1,0,0] neg_lo:[0,0,1] neg_hi:[0,0,1]
	s_mov_b32 s22, 0xbeb58ec6
	v_pk_mul_f32 v[8:9], v[84:85], s[10:11] op_sel:[1,0] op_sel_hi:[0,0]
	s_mov_b32 s12, 0xbe750f2a
	v_pk_add_f32 v[78:79], v[40:41], v[38:39]
	v_mov_b32_e32 v5, v1
	v_pk_fma_f32 v[6:7], v[72:73], s[22:23], v[8:9] op_sel_hi:[1,0,1]
	v_pk_fma_f32 v[14:15], v[72:73], s[22:23], v[8:9] op_sel_hi:[1,0,1] neg_lo:[0,0,1] neg_hi:[0,0,1]
	s_mov_b32 s26, 0xbf788fa5
	v_pk_mul_f32 v[12:13], v[82:83], s[12:13] op_sel:[1,0] op_sel_hi:[0,0]
	v_mov_b32_e32 v1, v3
	v_pk_add_f32 v[80:81], v[28:29], v[34:35] neg_lo:[0,1] neg_hi:[0,1]
	v_mov_b32_e32 v9, v15
	v_pk_fma_f32 v[10:11], v[78:79], s[26:27], v[12:13] op_sel_hi:[1,0,1]
	v_pk_fma_f32 v[16:17], v[78:79], s[26:27], v[12:13] op_sel_hi:[1,0,1] neg_lo:[0,0,1] neg_hi:[0,0,1]
	s_mov_b32 s14, 0x3f29c268
	v_pk_add_f32 v[0:1], v[0:1], v[20:21]
	v_mov_b32_e32 v15, v7
	v_pk_add_f32 v[76:77], v[34:35], v[28:29]
	v_mov_b32_e32 v13, v17
	s_mov_b32 s28, 0xbf3f9e67
	v_pk_mul_f32 v[18:19], v[80:81], s[14:15] op_sel:[1,0] op_sel_hi:[0,0]
	v_pk_add_f32 v[0:1], v[14:15], v[0:1]
	v_mov_b32_e32 v17, v11
	v_pk_add_f32 v[0:1], v[16:17], v[0:1]
	v_pk_fma_f32 v[14:15], v[76:77], s[28:29], v[18:19] op_sel_hi:[1,0,1] neg_lo:[0,0,1] neg_hi:[0,0,1]
	v_pk_fma_f32 v[16:17], v[76:77], s[28:29], v[18:19] op_sel_hi:[1,0,1]
	v_pk_add_f32 v[88:89], v[32:33], v[30:31]
	v_mov_b32_e32 v18, v14
	v_mov_b32_e32 v19, v17
	s_mov_b32 s38, 0x3df6dbef
	v_pk_add_f32 v[18:19], v[18:19], v[0:1]
	v_pk_add_f32 v[0:1], v[30:31], v[32:33] neg_lo:[0,1] neg_hi:[0,1]
	s_mov_b32 s18, 0x3f7e222b
	v_pk_mul_f32 v[90:91], v[88:89], s[38:39] op_sel_hi:[1,0]
	s_mov_b32 s20, 0xbf7e222b
	v_pk_fma_f32 v[92:93], v[0:1], s[18:19], v[90:91] op_sel:[1,0,0] op_sel_hi:[0,0,1] neg_lo:[1,0,0] neg_hi:[1,0,0]
	v_pk_fma_f32 v[90:91], v[0:1], s[18:19], v[90:91] op_sel:[1,0,0] op_sel_hi:[0,0,1]
	v_mov_b32_e32 v94, v92
	v_mov_b32_e32 v95, v91
	v_pk_mul_f32 v[98:99], v[86:87], s[20:21] op_sel_hi:[1,0]
	v_pk_add_f32 v[18:19], v[94:95], v[18:19]
	v_pk_mul_f32 v[94:95], v[84:85], s[12:13] op_sel:[1,0] op_sel_hi:[0,0]
	v_pk_fma_f32 v[100:101], v[74:75], s[38:39], v[98:99] op_sel:[0,0,1] op_sel_hi:[1,0,0] neg_lo:[0,0,1] neg_hi:[0,0,1]
	v_pk_fma_f32 v[98:99], v[74:75], s[38:39], v[98:99] op_sel:[0,0,1] op_sel_hi:[1,0,0]
	v_pk_fma_f32 v[96:97], v[72:73], s[26:27], v[94:95] op_sel_hi:[1,0,1]
	v_pk_fma_f32 v[94:95], v[72:73], s[26:27], v[94:95] op_sel_hi:[1,0,1] neg_lo:[0,0,1] neg_hi:[0,0,1]
	v_mov_b32_e32 v102, v100
	v_mov_b32_e32 v103, v99
	v_pk_add_f32 v[102:103], v[102:103], v[20:21]
	v_mov_b32_e32 v3, v95
	v_mov_b32_e32 v95, v97
	s_mov_b32 s36, 0x3f6f5d39
	v_pk_add_f32 v[94:95], v[94:95], v[102:103]
	v_pk_mul_f32 v[102:103], v[82:83], s[36:37] op_sel:[1,0] op_sel_hi:[0,0]
	v_pk_fma_f32 v[104:105], v[78:79], s[22:23], v[102:103] op_sel_hi:[1,0,1]
	v_pk_fma_f32 v[102:103], v[78:79], s[22:23], v[102:103] op_sel_hi:[1,0,1] neg_lo:[0,0,1] neg_hi:[0,0,1]
	s_mov_b32 s34, 0x3eedf032
	v_mov_b32_e32 v7, v103
	v_mov_b32_e32 v103, v105
	v_pk_add_f32 v[94:95], v[102:103], v[94:95]
	s_mov_b32 s42, 0x3f62ad3f
	v_pk_mul_f32 v[102:103], v[80:81], s[34:35] op_sel:[1,0] op_sel_hi:[0,0]
	v_pk_fma_f32 v[106:107], v[76:77], s[42:43], v[102:103] op_sel_hi:[1,0,1]
	v_pk_fma_f32 v[102:103], v[76:77], s[42:43], v[102:103] op_sel_hi:[1,0,1] neg_lo:[0,0,1] neg_hi:[0,0,1]
	v_mov_b32_e32 v4, v2
	v_mov_b32_e32 v11, v103
	;; [unrolled: 1-line block ×3, first 2 shown]
	v_pk_add_f32 v[94:95], v[102:103], v[94:95]
	v_pk_mul_f32 v[102:103], v[0:1], s[8:9] op_sel:[1,0] op_sel_hi:[0,0]
	v_pk_fma_f32 v[108:109], v[88:89], s[24:25], v[102:103] op_sel_hi:[1,0,1]
	v_pk_fma_f32 v[102:103], v[88:89], s[24:25], v[102:103] op_sel_hi:[1,0,1] neg_lo:[0,0,1] neg_hi:[0,0,1]
	v_pk_add_f32 v[112:113], v[24:25], v[26:27] neg_lo:[0,1] neg_hi:[0,1]
	v_mov_b32_e32 v97, v103
	v_mov_b32_e32 v103, v109
	v_pk_add_f32 v[94:95], v[102:103], v[94:95]
	v_pk_add_f32 v[102:103], v[26:27], v[24:25]
	v_mov_b32_e32 v8, v6
	v_pk_mul_f32 v[110:111], v[102:103], s[42:43] op_sel_hi:[1,0]
	v_pk_add_f32 v[4:5], v[4:5], v[20:21]
	v_mov_b32_e32 v99, v101
	v_pk_fma_f32 v[114:115], v[112:113], s[34:35], v[110:111] op_sel:[1,0,0] op_sel_hi:[0,0,1] neg_lo:[1,0,0] neg_hi:[1,0,0]
	v_pk_fma_f32 v[110:111], v[112:113], s[34:35], v[110:111] op_sel:[1,0,0] op_sel_hi:[0,0,1]
	v_pk_add_f32 v[4:5], v[8:9], v[4:5]
	v_mov_b32_e32 v2, v96
	v_mov_b32_e32 v12, v10
	v_pk_add_f32 v[8:9], v[98:99], v[20:21]
	s_mov_b32 s30, 0xbf29c268
	v_mov_b32_e32 v116, v114
	v_mov_b32_e32 v117, v111
	v_pk_add_f32 v[4:5], v[12:13], v[4:5]
	v_mov_b32_e32 v6, v104
	v_mov_b32_e32 v17, v15
	v_pk_add_f32 v[2:3], v[2:3], v[8:9]
	v_pk_add_f32 v[224:225], v[116:117], v[18:19]
	v_pk_mul_f32 v[18:19], v[112:113], s[30:31] op_sel:[1,0] op_sel_hi:[0,0]
	v_pk_add_f32 v[4:5], v[16:17], v[4:5]
	v_mov_b32_e32 v10, v106
	v_mov_b32_e32 v91, v93
	v_pk_add_f32 v[2:3], v[6:7], v[2:3]
	v_pk_fma_f32 v[116:117], v[102:103], s[28:29], v[18:19] op_sel_hi:[1,0,1] neg_lo:[0,0,1] neg_hi:[0,0,1]
	v_pk_fma_f32 v[18:19], v[102:103], s[28:29], v[18:19] op_sel_hi:[1,0,1]
	v_pk_add_f32 v[4:5], v[90:91], v[4:5]
	v_mov_b32_e32 v96, v108
	v_mov_b32_e32 v111, v115
	v_pk_add_f32 v[2:3], v[10:11], v[2:3]
	v_mov_b32_e32 v119, v19
	v_pk_add_f32 v[2:3], v[96:97], v[2:3]
	;; [unrolled: 2-line block ×3, first 2 shown]
	v_pk_mul_f32 v[6:7], v[86:87], s[30:31] op_sel_hi:[1,0]
	v_pk_add_f32 v[2:3], v[18:19], v[2:3]
	v_pk_mul_f32 v[8:9], v[84:85], s[18:19] op_sel:[1,0] op_sel_hi:[0,0]
	v_accvgpr_write_b32 a35, v5
	v_accvgpr_write_b32 a34, v4
	;; [unrolled: 1-line block ×4, first 2 shown]
	v_pk_fma_f32 v[2:3], v[74:75], s[28:29], v[6:7] op_sel:[0,0,1] op_sel_hi:[1,0,0] neg_lo:[0,0,1] neg_hi:[0,0,1]
	v_pk_fma_f32 v[4:5], v[74:75], s[28:29], v[6:7] op_sel:[0,0,1] op_sel_hi:[1,0,0]
	v_mov_b32_e32 v6, v2
	v_mov_b32_e32 v7, v5
	v_pk_fma_f32 v[10:11], v[72:73], s[38:39], v[8:9] op_sel_hi:[1,0,1] neg_lo:[0,0,1] neg_hi:[0,0,1]
	v_pk_fma_f32 v[8:9], v[72:73], s[38:39], v[8:9] op_sel_hi:[1,0,1]
	v_mov_b32_e32 v12, v10
	v_mov_b32_e32 v13, v9
	v_pk_add_f32 v[6:7], v[6:7], v[20:21]
	s_mov_b32 s40, 0x3e750f2a
	v_pk_add_f32 v[6:7], v[12:13], v[6:7]
	v_pk_mul_f32 v[12:13], v[82:83], s[8:9] op_sel:[1,0] op_sel_hi:[0,0]
	v_pk_fma_f32 v[14:15], v[78:79], s[24:25], v[12:13] op_sel_hi:[1,0,1] neg_lo:[0,0,1] neg_hi:[0,0,1]
	v_pk_fma_f32 v[12:13], v[78:79], s[24:25], v[12:13] op_sel_hi:[1,0,1]
	v_mov_b32_e32 v16, v14
	v_mov_b32_e32 v17, v13
	v_pk_add_f32 v[6:7], v[16:17], v[6:7]
	v_pk_mul_f32 v[16:17], v[80:81], s[40:41] op_sel:[1,0] op_sel_hi:[0,0]
	v_pk_fma_f32 v[18:19], v[76:77], s[26:27], v[16:17] op_sel_hi:[1,0,1] neg_lo:[0,0,1] neg_hi:[0,0,1]
	v_pk_fma_f32 v[16:17], v[76:77], s[26:27], v[16:17] op_sel_hi:[1,0,1]
	v_mov_b32_e32 v90, v18
	v_mov_b32_e32 v91, v17
	v_pk_add_f32 v[6:7], v[90:91], v[6:7]
	v_pk_mul_f32 v[90:91], v[86:87], s[10:11] op_sel_hi:[1,0]
	v_mov_b32_e32 v118, v116
	v_pk_fma_f32 v[92:93], v[74:75], s[22:23], v[90:91] op_sel:[0,0,1] op_sel_hi:[1,0,0] neg_lo:[0,0,1] neg_hi:[0,0,1]
	v_pk_fma_f32 v[90:91], v[74:75], s[22:23], v[90:91] op_sel:[0,0,1] op_sel_hi:[1,0,0]
	v_pk_mul_f32 v[96:97], v[84:85], s[14:15] op_sel:[1,0] op_sel_hi:[0,0]
	v_pk_add_f32 v[226:227], v[118:119], v[94:95]
	v_mov_b32_e32 v94, v92
	v_mov_b32_e32 v95, v91
	v_pk_fma_f32 v[98:99], v[72:73], s[28:29], v[96:97] op_sel_hi:[1,0,1] neg_lo:[0,0,1] neg_hi:[0,0,1]
	v_pk_fma_f32 v[96:97], v[72:73], s[28:29], v[96:97] op_sel_hi:[1,0,1]
	v_mov_b32_e32 v100, v98
	v_mov_b32_e32 v101, v97
	v_pk_add_f32 v[94:95], v[94:95], v[20:21]
	v_mov_b32_e32 v5, v3
	v_pk_add_f32 v[94:95], v[100:101], v[94:95]
	v_pk_mul_f32 v[100:101], v[82:83], s[34:35] op_sel:[1,0] op_sel_hi:[0,0]
	v_pk_fma_f32 v[104:105], v[78:79], s[42:43], v[100:101] op_sel_hi:[1,0,1]
	v_pk_fma_f32 v[100:101], v[78:79], s[42:43], v[100:101] op_sel_hi:[1,0,1] neg_lo:[0,0,1] neg_hi:[0,0,1]
	v_mov_b32_e32 v91, v93
	v_mov_b32_e32 v107, v101
	;; [unrolled: 1-line block ×3, first 2 shown]
	v_pk_add_f32 v[94:95], v[100:101], v[94:95]
	v_pk_mul_f32 v[100:101], v[80:81], s[20:21] op_sel:[1,0] op_sel_hi:[0,0]
	v_pk_fma_f32 v[108:109], v[76:77], s[38:39], v[100:101] op_sel_hi:[1,0,1]
	v_pk_fma_f32 v[100:101], v[76:77], s[38:39], v[100:101] op_sel_hi:[1,0,1] neg_lo:[0,0,1] neg_hi:[0,0,1]
	s_mov_b32 s44, 0x3f52af12
	v_mov_b32_e32 v105, v101
	v_mov_b32_e32 v101, v109
	v_pk_add_f32 v[94:95], v[100:101], v[94:95]
	v_pk_mul_f32 v[100:101], v[0:1], s[40:41] op_sel:[1,0] op_sel_hi:[0,0]
	v_pk_fma_f32 v[110:111], v[88:89], s[26:27], v[100:101] op_sel_hi:[1,0,1] neg_lo:[0,0,1] neg_hi:[0,0,1]
	v_pk_fma_f32 v[100:101], v[88:89], s[26:27], v[100:101] op_sel_hi:[1,0,1]
	v_mov_b32_e32 v114, v110
	v_mov_b32_e32 v115, v101
	v_pk_add_f32 v[94:95], v[114:115], v[94:95]
	v_pk_mul_f32 v[114:115], v[88:89], s[42:43] op_sel_hi:[1,0]
	v_pk_add_f32 v[2:3], v[4:5], v[20:21]
	v_pk_fma_f32 v[116:117], v[0:1], s[34:35], v[114:115] op_sel:[1,0,0] op_sel_hi:[0,0,1] neg_lo:[1,0,0] neg_hi:[1,0,0]
	v_pk_fma_f32 v[114:115], v[0:1], s[34:35], v[114:115] op_sel:[1,0,0] op_sel_hi:[0,0,1]
	v_mov_b32_e32 v118, v116
	v_mov_b32_e32 v119, v115
	v_pk_add_f32 v[6:7], v[118:119], v[6:7]
	v_pk_mul_f32 v[118:119], v[102:103], s[24:25] op_sel_hi:[1,0]
	v_mov_b32_e32 v97, v99
	v_pk_add_f32 v[4:5], v[90:91], v[20:21]
	v_pk_fma_f32 v[120:121], v[112:113], s[44:45], v[118:119] op_sel:[1,0,0] op_sel_hi:[0,0,1] neg_lo:[1,0,0] neg_hi:[1,0,0]
	v_pk_fma_f32 v[118:119], v[112:113], s[44:45], v[118:119] op_sel:[1,0,0] op_sel_hi:[0,0,1]
	v_mov_b32_e32 v106, v104
	v_mov_b32_e32 v9, v11
	v_pk_add_f32 v[4:5], v[96:97], v[4:5]
	v_mov_b32_e32 v122, v120
	v_mov_b32_e32 v123, v119
	;; [unrolled: 1-line block ×3, first 2 shown]
	v_pk_add_f32 v[2:3], v[8:9], v[2:3]
	v_mov_b32_e32 v13, v15
	v_pk_add_f32 v[4:5], v[106:107], v[4:5]
	v_pk_add_f32 v[132:133], v[122:123], v[94:95]
	v_pk_mul_f32 v[94:95], v[102:103], s[22:23] op_sel_hi:[1,0]
	v_pk_add_f32 v[2:3], v[12:13], v[2:3]
	v_mov_b32_e32 v17, v19
	v_pk_add_f32 v[4:5], v[104:105], v[4:5]
	v_mov_b32_e32 v101, v111
	v_pk_fma_f32 v[122:123], v[112:113], s[10:11], v[94:95] op_sel:[1,0,0] op_sel_hi:[0,0,1] neg_lo:[1,0,0] neg_hi:[1,0,0]
	v_pk_fma_f32 v[94:95], v[112:113], s[10:11], v[94:95] op_sel:[1,0,0] op_sel_hi:[0,0,1]
	v_pk_add_f32 v[2:3], v[16:17], v[2:3]
	v_pk_add_f32 v[4:5], v[100:101], v[4:5]
	v_mov_b32_e32 v115, v117
	v_mov_b32_e32 v119, v121
	;; [unrolled: 1-line block ×3, first 2 shown]
	v_pk_add_f32 v[2:3], v[114:115], v[2:3]
	v_mov_b32_e32 v95, v123
	v_pk_add_f32 v[4:5], v[118:119], v[4:5]
	v_pk_add_f32 v[2:3], v[94:95], v[2:3]
	v_mov_b32_e32 v124, v122
	v_accvgpr_write_b32 a43, v5
	v_accvgpr_write_b32 a42, v4
	;; [unrolled: 1-line block ×4, first 2 shown]
	v_pk_mul_f32 v[2:3], v[86:87], s[12:13] op_sel_hi:[1,0]
	v_pk_mul_f32 v[8:9], v[84:85], s[34:35] op_sel:[1,0] op_sel_hi:[0,0]
	v_pk_fma_f32 v[4:5], v[74:75], s[26:27], v[2:3] op_sel:[0,0,1] op_sel_hi:[1,0,0] neg_lo:[0,0,1] neg_hi:[0,0,1]
	v_pk_fma_f32 v[2:3], v[74:75], s[26:27], v[2:3] op_sel:[0,0,1] op_sel_hi:[1,0,0]
	v_pk_add_f32 v[134:135], v[124:125], v[6:7]
	v_mov_b32_e32 v7, v3
	v_pk_fma_f32 v[10:11], v[72:73], s[42:43], v[8:9] op_sel_hi:[1,0,1] neg_lo:[0,0,1] neg_hi:[0,0,1]
	v_pk_fma_f32 v[8:9], v[72:73], s[42:43], v[8:9] op_sel_hi:[1,0,1]
	v_mov_b32_e32 v3, v5
	v_mov_b32_e32 v6, v4
	v_mov_b32_e32 v17, v9
	v_mov_b32_e32 v9, v11
	v_pk_add_f32 v[2:3], v[2:3], v[20:21]
	v_pk_mul_f32 v[4:5], v[82:83], s[30:31] op_sel:[1,0] op_sel_hi:[0,0]
	v_pk_add_f32 v[2:3], v[8:9], v[2:3]
	v_pk_fma_f32 v[8:9], v[78:79], s[28:29], v[4:5] op_sel_hi:[1,0,1] neg_lo:[0,0,1] neg_hi:[0,0,1]
	v_pk_fma_f32 v[4:5], v[78:79], s[28:29], v[4:5] op_sel_hi:[1,0,1]
	v_mov_b32_e32 v16, v10
	v_mov_b32_e32 v11, v5
	;; [unrolled: 1-line block ×3, first 2 shown]
	v_pk_add_f32 v[6:7], v[6:7], v[20:21]
	v_pk_add_f32 v[2:3], v[4:5], v[2:3]
	v_pk_mul_f32 v[4:5], v[76:77], s[24:25] op_sel_hi:[1,0]
	v_pk_add_f32 v[6:7], v[16:17], v[6:7]
	v_mov_b32_e32 v10, v8
	v_pk_fma_f32 v[8:9], v[80:81], s[44:45], v[4:5] op_sel:[1,0,0] op_sel_hi:[0,0,1] neg_lo:[1,0,0] neg_hi:[1,0,0]
	v_pk_fma_f32 v[4:5], v[80:81], s[44:45], v[4:5] op_sel:[1,0,0] op_sel_hi:[0,0,1]
	v_pk_add_f32 v[6:7], v[10:11], v[6:7]
	v_mov_b32_e32 v11, v9
	v_mov_b32_e32 v9, v5
	;; [unrolled: 1-line block ×3, first 2 shown]
	v_pk_add_f32 v[4:5], v[8:9], v[6:7]
	v_pk_mul_f32 v[6:7], v[88:89], s[22:23] op_sel_hi:[1,0]
	v_pk_add_f32 v[2:3], v[10:11], v[2:3]
	v_pk_fma_f32 v[8:9], v[0:1], s[10:11], v[6:7] op_sel:[1,0,0] op_sel_hi:[0,0,1] neg_lo:[1,0,0] neg_hi:[1,0,0]
	v_pk_fma_f32 v[6:7], v[0:1], s[10:11], v[6:7] op_sel:[1,0,0] op_sel_hi:[0,0,1]
	v_mov_b32_e32 v11, v7
	v_mov_b32_e32 v7, v9
	v_pk_add_f32 v[2:3], v[6:7], v[2:3]
	v_pk_mul_f32 v[6:7], v[112:113], s[18:19] op_sel:[1,0] op_sel_hi:[0,0]
	v_mov_b32_e32 v10, v8
	v_pk_fma_f32 v[8:9], v[102:103], s[38:39], v[6:7] op_sel_hi:[1,0,1] neg_lo:[0,0,1] neg_hi:[0,0,1]
	v_pk_fma_f32 v[6:7], v[102:103], s[38:39], v[6:7] op_sel_hi:[1,0,1]
	v_pk_add_f32 v[4:5], v[10:11], v[4:5]
	v_mov_b32_e32 v11, v7
	v_mov_b32_e32 v7, v9
	v_pk_add_f32 v[6:7], v[6:7], v[2:3]
	v_pk_add_f32 v[2:3], v[44:45], v[46:47]
	v_mov_b32_e32 v10, v8
	v_pk_add_f32 v[2:3], v[2:3], v[52:53]
	v_pk_add_f32 v[4:5], v[10:11], v[4:5]
	;; [unrolled: 1-line block ×3, first 2 shown]
	v_accvgpr_write_b32 a47, v7
	v_pk_add_f32 v[2:3], v[2:3], v[64:65]
	v_accvgpr_write_b32 a46, v6
	v_accvgpr_write_b32 a45, v5
	;; [unrolled: 1-line block ×3, first 2 shown]
	v_pk_add_f32 v[6:7], v[2:3], v[66:67]
	s_mov_b32 s46, 0xbeedf032
	v_pk_add_f32 v[6:7], v[6:7], v[48:49]
	v_pk_add_f32 v[116:117], v[58:59], v[52:53]
	;; [unrolled: 1-line block ×3, first 2 shown]
	v_pk_add_f32 v[16:17], v[52:53], v[58:59] neg_lo:[0,1] neg_hi:[0,1]
	v_pk_add_f32 v[6:7], v[6:7], v[60:61]
	v_pk_add_f32 v[110:111], v[56:57], v[54:55]
	;; [unrolled: 1-line block ×3, first 2 shown]
	v_pk_add_f32 v[18:19], v[54:55], v[56:57] neg_lo:[0,1] neg_hi:[0,1]
	v_pk_add_f32 v[6:7], v[6:7], v[56:57]
	v_pk_add_f32 v[104:105], v[48:49], v[50:51] neg_lo:[0,1] neg_hi:[0,1]
	v_pk_add_f32 v[90:91], v[6:7], v[58:59]
	v_pk_add_f32 v[6:7], v[50:51], v[48:49]
	v_pk_mul_f32 v[50:51], v[86:87], s[46:47] op_sel_hi:[1,0]
	v_pk_mul_f32 v[52:53], v[84:85], s[8:9] op_sel:[1,0] op_sel_hi:[0,0]
	v_pk_mul_f32 v[54:55], v[82:83], s[20:21] op_sel:[1,0] op_sel_hi:[0,0]
	;; [unrolled: 1-line block ×4, first 2 shown]
	v_pk_add_f32 v[4:5], v[62:63], v[64:65]
	v_pk_add_f32 v[8:9], v[64:65], v[62:63] neg_lo:[0,1] neg_hi:[0,1]
	v_pk_add_f32 v[2:3], v[60:61], v[66:67]
	v_pk_add_f32 v[10:11], v[66:67], v[60:61] neg_lo:[0,1] neg_hi:[0,1]
	v_pk_fma_f32 v[48:49], v[74:75], s[42:43], v[50:51] op_sel:[0,0,1] op_sel_hi:[1,0,0]
	v_pk_fma_f32 v[74:75], v[74:75], s[42:43], v[50:51] op_sel:[0,0,1] op_sel_hi:[1,0,0] neg_lo:[0,0,1] neg_hi:[0,0,1]
	v_pk_fma_f32 v[50:51], v[72:73], s[24:25], v[52:53] op_sel_hi:[1,0,1]
	v_pk_fma_f32 v[72:73], v[72:73], s[24:25], v[52:53] op_sel_hi:[1,0,1] neg_lo:[0,0,1] neg_hi:[0,0,1]
	v_pk_fma_f32 v[52:53], v[78:79], s[38:39], v[54:55] op_sel_hi:[1,0,1]
	v_pk_fma_f32 v[66:67], v[78:79], s[38:39], v[54:55] op_sel_hi:[1,0,1] neg_lo:[0,0,1] neg_hi:[0,0,1]
	;; [unrolled: 2-line block ×4, first 2 shown]
	v_pk_mul_f32 v[0:1], v[112:113], s[12:13] op_sel:[1,0] op_sel_hi:[0,0]
	v_pk_add_f32 v[126:127], v[70:71], v[46:47]
	v_pk_add_f32 v[46:47], v[46:47], v[70:71] neg_lo:[0,1] neg_hi:[0,1]
	v_pk_fma_f32 v[58:59], v[102:103], s[26:27], v[0:1] op_sel_hi:[1,0,1]
	v_pk_fma_f32 v[60:61], v[102:103], s[26:27], v[0:1] op_sel_hi:[1,0,1] neg_lo:[0,0,1] neg_hi:[0,0,1]
	v_pk_add_f32 v[0:1], v[90:91], v[70:71]
	v_mov_b32_e32 v71, v127
	v_mov_b32_e32 v127, v46
	s_mov_b32 s43, s46
	v_mov_b32_e32 v70, v47
	v_mov_b32_e32 v47, v117
	;; [unrolled: 1-line block ×3, first 2 shown]
	s_mov_b32 s47, s42
	v_pk_mul_f32 v[90:91], v[126:127], s[42:43]
	s_mov_b32 s25, s8
	v_mov_b32_e32 v46, v17
	v_pk_fma_f32 v[16:17], v[70:71], s[46:47], v[90:91] neg_lo:[1,0,0] neg_hi:[1,0,0]
	v_pk_fma_f32 v[86:87], v[70:71], s[46:47], v[90:91]
	s_mov_b32 s9, s24
	v_pk_mul_f32 v[78:79], v[116:117], s[24:25]
	v_mov_b32_e32 v17, v87
	v_pk_fma_f32 v[80:81], v[46:47], s[8:9], v[78:79] neg_lo:[1,0,0] neg_hi:[1,0,0]
	v_pk_fma_f32 v[76:77], v[46:47], s[8:9], v[78:79]
	v_pk_add_f32 v[16:17], v[44:45], v[16:17]
	v_mov_b32_e32 v81, v77
	v_pk_add_f32 v[16:17], v[80:81], v[16:17]
	v_mov_b32_e32 v81, v111
	v_mov_b32_e32 v111, v18
	s_mov_b32 s39, s20
	v_mov_b32_e32 v80, v19
	s_mov_b32 s21, s38
	v_pk_mul_f32 v[84:85], v[110:111], s[38:39]
	v_mov_b32_e32 v89, v5
	v_mov_b32_e32 v5, v8
	s_mov_b32 s23, s10
	v_pk_fma_f32 v[18:19], v[80:81], s[20:21], v[84:85] neg_lo:[1,0,0] neg_hi:[1,0,0]
	v_pk_fma_f32 v[82:83], v[80:81], s[20:21], v[84:85]
	v_mov_b32_e32 v88, v9
	s_mov_b32 s11, s22
	v_pk_mul_f32 v[94:95], v[4:5], s[22:23]
	v_mov_b32_e32 v97, v3
	v_mov_b32_e32 v3, v10
	s_mov_b32 s29, s30
	v_mov_b32_e32 v19, v83
	v_pk_fma_f32 v[8:9], v[88:89], s[10:11], v[94:95] neg_lo:[1,0,0] neg_hi:[1,0,0]
	v_pk_fma_f32 v[92:93], v[88:89], s[10:11], v[94:95]
	v_mov_b32_e32 v96, v11
	s_mov_b32 s31, s28
	v_pk_mul_f32 v[100:101], v[2:3], s[28:29]
	v_pk_add_f32 v[16:17], v[18:19], v[16:17]
	v_mov_b32_e32 v9, v93
	v_pk_fma_f32 v[10:11], v[96:97], s[30:31], v[100:101] neg_lo:[1,0,0] neg_hi:[1,0,0]
	v_pk_fma_f32 v[98:99], v[96:97], s[30:31], v[100:101]
	v_mov_b32_e32 v103, v7
	v_mov_b32_e32 v7, v104
	s_mov_b32 s27, s12
	v_pk_add_f32 v[8:9], v[8:9], v[16:17]
	v_mov_b32_e32 v11, v99
	v_mov_b32_e32 v102, v105
	s_mov_b32 s13, s26
	v_pk_mul_f32 v[106:107], v[6:7], s[26:27]
	v_pk_add_f32 v[8:9], v[10:11], v[8:9]
	v_pk_fma_f32 v[10:11], v[102:103], s[12:13], v[106:107] neg_lo:[1,0,0] neg_hi:[1,0,0]
	v_pk_fma_f32 v[104:105], v[102:103], s[12:13], v[106:107]
	s_nop 0
	v_mov_b32_e32 v11, v105
	v_pk_add_f32 v[8:9], v[10:11], v[8:9]
	v_mul_lo_u16_e32 v10, 13, v130
	v_lshlrev_b32_e32 v129, 3, v10
	s_barrier
	ds_write2_b64 v129, v[0:1], v[8:9] offset1:1
	v_pk_mul_f32 v[8:9], v[126:127], s[24:25]
	v_pk_mul_f32 v[16:17], v[116:117], s[22:23]
	v_pk_fma_f32 v[10:11], v[70:71], s[8:9], v[8:9] neg_lo:[1,0,0] neg_hi:[1,0,0]
	v_pk_fma_f32 v[0:1], v[70:71], s[8:9], v[8:9]
	v_pk_fma_f32 v[108:109], v[46:47], s[10:11], v[16:17] neg_lo:[1,0,0] neg_hi:[1,0,0]
	v_mov_b32_e32 v11, v1
	v_pk_add_f32 v[18:19], v[44:45], v[10:11]
	v_pk_fma_f32 v[10:11], v[46:47], s[10:11], v[16:17]
	s_mov_b32 s50, s28
	v_mov_b32_e32 v109, v11
	v_pk_add_f32 v[112:113], v[108:109], v[18:19]
	v_pk_mul_f32 v[108:109], v[110:111], s[26:27]
	s_mov_b32 s51, s14
	v_pk_fma_f32 v[114:115], v[80:81], s[12:13], v[108:109] neg_lo:[1,0,0] neg_hi:[1,0,0]
	v_pk_fma_f32 v[18:19], v[80:81], s[12:13], v[108:109]
	s_mov_b32 s15, s28
	v_mov_b32_e32 v115, v19
	v_pk_add_f32 v[118:119], v[114:115], v[112:113]
	v_pk_mul_f32 v[114:115], v[4:5], s[50:51]
	s_mov_b32 s48, s38
	v_pk_fma_f32 v[120:121], v[88:89], s[14:15], v[114:115] neg_lo:[1,0,0] neg_hi:[1,0,0]
	v_pk_fma_f32 v[112:113], v[88:89], s[14:15], v[114:115]
	s_mov_b32 s49, s18
	v_mov_b32_e32 v121, v113
	v_pk_add_f32 v[122:123], v[120:121], v[118:119]
	s_mov_b32 s19, s38
	v_pk_mul_f32 v[120:121], v[2:3], s[48:49]
	v_accvgpr_write_b32 a36, v132
	v_pk_fma_f32 v[124:125], v[96:97], s[18:19], v[120:121] neg_lo:[1,0,0] neg_hi:[1,0,0]
	v_pk_fma_f32 v[118:119], v[96:97], s[18:19], v[120:121]
	s_mov_b32 s43, s34
	v_mov_b32_e32 v125, v119
	v_accvgpr_write_b32 a37, v133
	v_accvgpr_write_b32 a38, v134
	;; [unrolled: 1-line block ×3, first 2 shown]
	v_pk_add_f32 v[132:133], v[124:125], v[122:123]
	s_mov_b32 s35, s42
	v_pk_mul_f32 v[124:125], v[6:7], s[42:43]
	v_pk_mul_f32 v[138:139], v[116:117], s[26:27]
	v_pk_fma_f32 v[134:135], v[102:103], s[34:35], v[124:125] neg_lo:[1,0,0] neg_hi:[1,0,0]
	v_pk_fma_f32 v[122:123], v[102:103], s[34:35], v[124:125]
	v_pk_fma_f32 v[144:145], v[46:47], s[12:13], v[138:139] neg_lo:[1,0,0] neg_hi:[1,0,0]
	v_mov_b32_e32 v135, v123
	v_pk_add_f32 v[148:149], v[134:135], v[132:133]
	v_pk_mul_f32 v[134:135], v[126:127], s[38:39]
	s_mov_b32 s52, s22
	v_pk_fma_f32 v[136:137], v[70:71], s[20:21], v[134:135] neg_lo:[1,0,0] neg_hi:[1,0,0]
	v_pk_fma_f32 v[132:133], v[70:71], s[20:21], v[134:135]
	s_mov_b32 s53, s36
	v_mov_b32_e32 v137, v133
	v_pk_add_f32 v[140:141], v[44:45], v[136:137]
	v_pk_fma_f32 v[136:137], v[46:47], s[12:13], v[138:139]
	s_mov_b32 s37, s22
	v_mov_b32_e32 v145, v137
	v_pk_add_f32 v[146:147], v[144:145], v[140:141]
	v_pk_mul_f32 v[144:145], v[110:111], s[52:53]
	v_pk_mul_f32 v[154:155], v[4:5], s[42:43]
	v_pk_fma_f32 v[150:151], v[80:81], s[36:37], v[144:145] neg_lo:[1,0,0] neg_hi:[1,0,0]
	v_pk_fma_f32 v[140:141], v[80:81], s[36:37], v[144:145]
	v_pk_fma_f32 v[156:157], v[88:89], s[34:35], v[154:155] neg_lo:[1,0,0] neg_hi:[1,0,0]
	v_mov_b32_e32 v151, v141
	v_pk_add_f32 v[150:151], v[150:151], v[146:147]
	v_pk_fma_f32 v[146:147], v[88:89], s[34:35], v[154:155]
	v_pk_mul_f32 v[166:167], v[116:117], s[50:51]
	v_mov_b32_e32 v157, v147
	v_pk_add_f32 v[150:151], v[156:157], v[150:151]
	v_pk_mul_f32 v[156:157], v[2:3], s[24:25]
	v_pk_fma_f32 v[168:169], v[46:47], s[14:15], v[166:167] neg_lo:[1,0,0] neg_hi:[1,0,0]
	v_pk_fma_f32 v[158:159], v[96:97], s[8:9], v[156:157] neg_lo:[1,0,0] neg_hi:[1,0,0]
	v_pk_fma_f32 v[160:161], v[96:97], s[8:9], v[156:157]
	v_pk_fma_f32 v[170:171], v[46:47], s[14:15], v[166:167]
	v_mov_b32_e32 v159, v161
	v_pk_add_f32 v[150:151], v[158:159], v[150:151]
	v_pk_mul_f32 v[158:159], v[6:7], s[28:29]
	v_mov_b32_e32 v169, v171
	v_pk_fma_f32 v[162:163], v[102:103], s[30:31], v[158:159] neg_lo:[1,0,0] neg_hi:[1,0,0]
	v_pk_fma_f32 v[164:165], v[102:103], s[30:31], v[158:159]
	s_mov_b32 s41, s26
	v_mov_b32_e32 v163, v165
	v_pk_add_f32 v[150:151], v[162:163], v[150:151]
	ds_write2_b64 v129, v[148:149], v[150:151] offset0:2 offset1:3
	v_pk_mul_f32 v[148:149], v[126:127], s[22:23]
	s_mov_b32 s50, s24
	v_pk_fma_f32 v[150:151], v[70:71], s[10:11], v[148:149] neg_lo:[1,0,0] neg_hi:[1,0,0]
	v_pk_fma_f32 v[162:163], v[70:71], s[10:11], v[148:149]
	s_mov_b32 s51, s44
	v_mov_b32_e32 v151, v163
	v_pk_add_f32 v[150:151], v[44:45], v[150:151]
	s_mov_b32 s45, s24
	v_pk_add_f32 v[150:151], v[168:169], v[150:151]
	v_pk_mul_f32 v[168:169], v[110:111], s[42:43]
	v_pk_mul_f32 v[192:193], v[116:117], s[48:49]
	v_pk_fma_f32 v[172:173], v[80:81], s[34:35], v[168:169] neg_lo:[1,0,0] neg_hi:[1,0,0]
	v_pk_fma_f32 v[174:175], v[80:81], s[34:35], v[168:169]
	v_pk_fma_f32 v[194:195], v[46:47], s[18:19], v[192:193] neg_lo:[1,0,0] neg_hi:[1,0,0]
	v_mov_b32_e32 v173, v175
	v_pk_add_f32 v[150:151], v[172:173], v[150:151]
	v_pk_mul_f32 v[172:173], v[4:5], s[38:39]
	s_mov_b32 s38, s26
	v_pk_fma_f32 v[176:177], v[88:89], s[20:21], v[172:173] neg_lo:[1,0,0] neg_hi:[1,0,0]
	v_pk_fma_f32 v[178:179], v[88:89], s[20:21], v[172:173]
	s_mov_b32 s39, s40
	v_mov_b32_e32 v177, v179
	v_pk_add_f32 v[150:151], v[176:177], v[150:151]
	v_pk_mul_f32 v[176:177], v[2:3], s[38:39]
	v_pk_fma_f32 v[196:197], v[46:47], s[18:19], v[192:193]
	v_pk_fma_f32 v[180:181], v[96:97], s[40:41], v[176:177] neg_lo:[1,0,0] neg_hi:[1,0,0]
	v_pk_fma_f32 v[182:183], v[96:97], s[40:41], v[176:177]
	v_mov_b32_e32 v195, v197
	v_mov_b32_e32 v181, v183
	v_pk_add_f32 v[150:151], v[180:181], v[150:151]
	v_pk_mul_f32 v[180:181], v[6:7], s[50:51]
	v_pk_mul_f32 v[116:117], v[116:117], s[42:43]
	v_pk_fma_f32 v[184:185], v[102:103], s[44:45], v[180:181] neg_lo:[1,0,0] neg_hi:[1,0,0]
	v_pk_fma_f32 v[186:187], v[102:103], s[44:45], v[180:181]
	v_pk_fma_f32 v[214:215], v[46:47], s[34:35], v[116:117]
	v_mov_b32_e32 v185, v187
	v_pk_add_f32 v[150:151], v[184:185], v[150:151]
	v_pk_mul_f32 v[184:185], v[126:127], s[28:29]
	v_pk_mul_f32 v[126:127], v[126:127], s[26:27]
	v_pk_fma_f32 v[188:189], v[70:71], s[30:31], v[184:185] neg_lo:[1,0,0] neg_hi:[1,0,0]
	v_pk_fma_f32 v[190:191], v[70:71], s[30:31], v[184:185]
	v_accvgpr_write_b32 a12, v130
	v_mov_b32_e32 v189, v191
	v_pk_add_f32 v[188:189], v[44:45], v[188:189]
	v_accvgpr_write_b32 a13, v131
	v_pk_add_f32 v[188:189], v[194:195], v[188:189]
	v_pk_mul_f32 v[194:195], v[110:111], s[24:25]
	v_pk_mul_f32 v[110:111], v[110:111], s[28:29]
	v_pk_fma_f32 v[198:199], v[80:81], s[8:9], v[194:195] neg_lo:[1,0,0] neg_hi:[1,0,0]
	v_pk_fma_f32 v[200:201], v[80:81], s[8:9], v[194:195]
	v_pk_fma_f32 v[216:217], v[80:81], s[30:31], v[110:111]
	v_mov_b32_e32 v199, v201
	v_pk_add_f32 v[188:189], v[198:199], v[188:189]
	v_pk_mul_f32 v[198:199], v[4:5], s[38:39]
	v_pk_mul_f32 v[4:5], v[4:5], s[50:51]
	v_pk_fma_f32 v[202:203], v[88:89], s[40:41], v[198:199] neg_lo:[1,0,0] neg_hi:[1,0,0]
	v_pk_fma_f32 v[204:205], v[88:89], s[40:41], v[198:199]
	v_pk_fma_f32 v[218:219], v[88:89], s[44:45], v[4:5]
	v_mov_b32_e32 v203, v205
	;; [unrolled: 7-line block ×4, first 2 shown]
	v_pk_add_f32 v[188:189], v[210:211], v[188:189]
	ds_write2_b64 v129, v[150:151], v[188:189] offset0:4 offset1:5
	v_pk_fma_f32 v[150:151], v[70:71], s[12:13], v[126:127] neg_lo:[1,0,0] neg_hi:[1,0,0]
	v_pk_fma_f32 v[188:189], v[70:71], s[12:13], v[126:127]
	v_pk_fma_f32 v[210:211], v[46:47], s[34:35], v[116:117] neg_lo:[1,0,0] neg_hi:[1,0,0]
	v_mov_b32_e32 v151, v189
	v_pk_add_f32 v[150:151], v[44:45], v[150:151]
	v_mov_b32_e32 v211, v215
	v_pk_add_f32 v[150:151], v[210:211], v[150:151]
	v_pk_fma_f32 v[210:211], v[80:81], s[30:31], v[110:111] neg_lo:[1,0,0] neg_hi:[1,0,0]
	v_pk_fma_f32 v[126:127], v[70:71], s[12:13], v[126:127] neg_lo:[0,0,1] neg_hi:[0,0,1]
	v_mov_b32_e32 v211, v217
	v_mov_b32_e32 v189, v127
	v_pk_fma_f32 v[116:117], v[46:47], s[34:35], v[116:117] neg_lo:[0,0,1] neg_hi:[0,0,1]
	v_pk_add_f32 v[150:151], v[210:211], v[150:151]
	v_pk_fma_f32 v[210:211], v[88:89], s[44:45], v[4:5] neg_lo:[1,0,0] neg_hi:[1,0,0]
	v_mov_b32_e32 v215, v117
	v_pk_add_f32 v[116:117], v[44:45], v[188:189]
	v_pk_fma_f32 v[110:111], v[80:81], s[30:31], v[110:111] neg_lo:[0,0,1] neg_hi:[0,0,1]
	v_mov_b32_e32 v211, v219
	v_pk_add_f32 v[116:117], v[214:215], v[116:117]
	v_mov_b32_e32 v217, v111
	v_pk_fma_f32 v[4:5], v[88:89], s[44:45], v[4:5] neg_lo:[0,0,1] neg_hi:[0,0,1]
	v_pk_add_f32 v[150:151], v[210:211], v[150:151]
	v_pk_fma_f32 v[210:211], v[96:97], s[10:11], v[2:3] neg_lo:[1,0,0] neg_hi:[1,0,0]
	v_pk_add_f32 v[110:111], v[216:217], v[116:117]
	v_mov_b32_e32 v219, v5
	v_pk_fma_f32 v[2:3], v[96:97], s[10:11], v[2:3] neg_lo:[0,0,1] neg_hi:[0,0,1]
	v_mov_b32_e32 v211, v221
	v_pk_add_f32 v[4:5], v[218:219], v[110:111]
	v_mov_b32_e32 v221, v3
	v_pk_add_f32 v[150:151], v[210:211], v[150:151]
	v_pk_fma_f32 v[210:211], v[102:103], s[18:19], v[6:7] neg_lo:[1,0,0] neg_hi:[1,0,0]
	v_pk_add_f32 v[2:3], v[220:221], v[4:5]
	v_pk_fma_f32 v[4:5], v[102:103], s[18:19], v[6:7] neg_lo:[0,0,1] neg_hi:[0,0,1]
	v_mov_b32_e32 v211, v223
	v_mov_b32_e32 v223, v5
	v_pk_fma_f32 v[4:5], v[80:81], s[8:9], v[194:195] neg_lo:[0,0,1] neg_hi:[0,0,1]
	v_pk_add_f32 v[150:151], v[210:211], v[150:151]
	v_mov_b32_e32 v201, v5
	v_pk_fma_f32 v[4:5], v[88:89], s[40:41], v[198:199] neg_lo:[0,0,1] neg_hi:[0,0,1]
	v_pk_add_f32 v[2:3], v[222:223], v[2:3]
	v_mov_b32_e32 v205, v5
	v_pk_fma_f32 v[4:5], v[96:97], s[34:35], v[202:203] neg_lo:[0,0,1] neg_hi:[0,0,1]
	ds_write2_b64 v129, v[150:151], v[2:3] offset0:6 offset1:7
	v_mov_b32_e32 v209, v5
	v_pk_fma_f32 v[4:5], v[102:103], s[10:11], v[206:207] neg_lo:[0,0,1] neg_hi:[0,0,1]
	v_pk_fma_f32 v[2:3], v[70:71], s[30:31], v[184:185] neg_lo:[0,0,1] neg_hi:[0,0,1]
	v_mov_b32_e32 v213, v5
	v_pk_fma_f32 v[4:5], v[70:71], s[10:11], v[148:149] neg_lo:[0,0,1] neg_hi:[0,0,1]
	v_mov_b32_e32 v191, v3
	;; [unrolled: 2-line block ×4, first 2 shown]
	v_pk_add_f32 v[2:3], v[44:45], v[190:191]
	v_mov_b32_e32 v171, v5
	v_pk_add_f32 v[4:5], v[44:45], v[162:163]
	v_pk_fma_f32 v[6:7], v[80:81], s[34:35], v[168:169] neg_lo:[0,0,1] neg_hi:[0,0,1]
	v_pk_add_f32 v[2:3], v[196:197], v[2:3]
	v_pk_add_f32 v[4:5], v[170:171], v[4:5]
	v_mov_b32_e32 v175, v7
	v_pk_fma_f32 v[6:7], v[88:89], s[20:21], v[172:173] neg_lo:[0,0,1] neg_hi:[0,0,1]
	v_pk_add_f32 v[2:3], v[200:201], v[2:3]
	v_pk_add_f32 v[4:5], v[174:175], v[4:5]
	v_mov_b32_e32 v179, v7
	;; [unrolled: 4-line block ×4, first 2 shown]
	v_pk_add_f32 v[2:3], v[212:213], v[2:3]
	v_pk_add_f32 v[4:5], v[186:187], v[4:5]
	ds_write2_b64 v129, v[2:3], v[4:5] offset0:8 offset1:9
	v_pk_fma_f32 v[4:5], v[80:81], s[36:37], v[144:145] neg_lo:[0,0,1] neg_hi:[0,0,1]
	v_pk_fma_f32 v[2:3], v[70:71], s[20:21], v[134:135] neg_lo:[0,0,1] neg_hi:[0,0,1]
	v_mov_b32_e32 v141, v5
	v_pk_fma_f32 v[4:5], v[88:89], s[34:35], v[154:155] neg_lo:[0,0,1] neg_hi:[0,0,1]
	v_mov_b32_e32 v133, v3
	v_mov_b32_e32 v147, v5
	v_pk_fma_f32 v[4:5], v[96:97], s[8:9], v[156:157] neg_lo:[0,0,1] neg_hi:[0,0,1]
	v_pk_fma_f32 v[2:3], v[46:47], s[12:13], v[138:139] neg_lo:[0,0,1] neg_hi:[0,0,1]
	v_mov_b32_e32 v161, v5
	v_pk_fma_f32 v[4:5], v[102:103], s[30:31], v[158:159] neg_lo:[0,0,1] neg_hi:[0,0,1]
	v_mov_b32_e32 v137, v3
	v_mov_b32_e32 v165, v5
	v_pk_fma_f32 v[4:5], v[70:71], s[8:9], v[8:9] neg_lo:[0,0,1] neg_hi:[0,0,1]
	v_pk_add_f32 v[2:3], v[44:45], v[132:133]
	v_mov_b32_e32 v1, v5
	v_pk_fma_f32 v[4:5], v[46:47], s[10:11], v[16:17] neg_lo:[0,0,1] neg_hi:[0,0,1]
	v_pk_add_f32 v[0:1], v[44:45], v[0:1]
	;; [unrolled: 3-line block ×3, first 2 shown]
	v_pk_add_f32 v[0:1], v[10:11], v[0:1]
	v_mov_b32_e32 v19, v5
	v_pk_fma_f32 v[4:5], v[88:89], s[14:15], v[114:115] neg_lo:[0,0,1] neg_hi:[0,0,1]
	v_pk_add_f32 v[2:3], v[140:141], v[2:3]
	v_pk_add_f32 v[0:1], v[18:19], v[0:1]
	v_mov_b32_e32 v113, v5
	v_pk_fma_f32 v[4:5], v[96:97], s[18:19], v[120:121] neg_lo:[0,0,1] neg_hi:[0,0,1]
	v_pk_add_f32 v[2:3], v[146:147], v[2:3]
	;; [unrolled: 4-line block ×3, first 2 shown]
	v_pk_add_f32 v[0:1], v[118:119], v[0:1]
	v_mov_b32_e32 v123, v5
	v_pk_add_f32 v[2:3], v[164:165], v[2:3]
	v_pk_add_f32 v[0:1], v[122:123], v[0:1]
	ds_write2_b64 v129, v[2:3], v[0:1] offset0:10 offset1:11
	v_mov_b32_e32 v2, v48
	v_mov_b32_e32 v3, v75
	v_pk_add_f32 v[2:3], v[2:3], v[20:21]
	v_mov_b32_e32 v4, v50
	v_mov_b32_e32 v5, v73
	v_pk_add_f32 v[2:3], v[4:5], v[2:3]
	;; [unrolled: 3-line block ×6, first 2 shown]
	v_pk_fma_f32 v[0:1], v[70:71], s[46:47], v[90:91] neg_lo:[0,0,1] neg_hi:[0,0,1]
	v_accvgpr_write_b32 a0, v2
	v_mov_b32_e32 v87, v1
	v_accvgpr_write_b32 a1, v3
	v_pk_fma_f32 v[2:3], v[46:47], s[8:9], v[78:79] neg_lo:[0,0,1] neg_hi:[0,0,1]
	v_pk_add_f32 v[0:1], v[44:45], v[86:87]
	v_mov_b32_e32 v77, v3
	v_pk_fma_f32 v[2:3], v[80:81], s[20:21], v[84:85] neg_lo:[0,0,1] neg_hi:[0,0,1]
	v_pk_add_f32 v[0:1], v[76:77], v[0:1]
	v_mov_b32_e32 v83, v3
	;; [unrolled: 3-line block ×4, first 2 shown]
	v_pk_fma_f32 v[2:3], v[102:103], s[12:13], v[106:107] neg_lo:[0,0,1] neg_hi:[0,0,1]
	v_mov_b64_e32 v[166:167], v[130:131]
	s_mov_b64 s[8:9], 0x75
	v_pk_add_f32 v[0:1], v[98:99], v[0:1]
	v_mov_b32_e32 v105, v3
	v_lshl_add_u64 v[76:77], v[166:167], 0, s[8:9]
	v_pk_add_f32 v[0:1], v[104:105], v[0:1]
	v_mov_b64_e32 v[168:169], v[224:225]
	ds_write_b64 v129, v[0:1] offset:96
	v_mul_u32_u24_e32 v0, 13, v76
	v_mov_b64_e32 v[170:171], v[226:227]
	v_accvgpr_write_b32 a56, v0
	s_and_saveexec_b64 s[8:9], vcc
	s_cbranch_execz .LBB0_7
; %bb.6:
	v_pk_add_f32 v[0:1], v[22:23], v[20:21]
	v_accvgpr_read_b32 v2, a56
	v_pk_add_f32 v[0:1], v[36:37], v[0:1]
	v_mov_b32_e32 v75, v49
	v_pk_add_f32 v[0:1], v[38:39], v[0:1]
	v_lshlrev_b32_e32 v4, 3, v2
	v_pk_add_f32 v[0:1], v[28:29], v[0:1]
	v_pk_add_f32 v[2:3], v[74:75], v[20:21]
	v_pk_add_f32 v[0:1], v[30:31], v[0:1]
	v_mov_b32_e32 v73, v51
	v_pk_add_f32 v[0:1], v[24:25], v[0:1]
	v_pk_add_f32 v[2:3], v[72:73], v[2:3]
	v_pk_add_f32 v[0:1], v[26:27], v[0:1]
	v_mov_b32_e32 v67, v53
	;; [unrolled: 4-line block ×3, first 2 shown]
	v_pk_add_f32 v[0:1], v[40:41], v[0:1]
	v_pk_add_f32 v[2:3], v[64:65], v[2:3]
	v_mov_b32_e32 v63, v57
	v_pk_add_f32 v[0:1], v[42:43], v[0:1]
	v_pk_add_f32 v[2:3], v[62:63], v[2:3]
	v_mov_b32_e32 v61, v59
	v_pk_add_f32 v[0:1], v[68:69], v[0:1]
	v_pk_add_f32 v[2:3], v[60:61], v[2:3]
	ds_write2_b64 v4, v[0:1], v[2:3] offset1:1
	ds_write2_b64 v4, v[168:169], v[170:171] offset0:2 offset1:3
	v_accvgpr_read_b32 v0, a36
	v_accvgpr_read_b32 v1, a37
	v_accvgpr_read_b32 v2, a38
	v_accvgpr_read_b32 v3, a39
	ds_write2_b64 v4, v[0:1], v[2:3] offset0:4 offset1:5
	v_accvgpr_read_b32 v0, a44
	v_accvgpr_read_b32 v1, a45
	v_accvgpr_read_b32 v2, a46
	v_accvgpr_read_b32 v3, a47
	;; [unrolled: 5-line block ×4, first 2 shown]
	ds_write2_b64 v4, v[0:1], v[2:3] offset0:10 offset1:11
	ds_write_b64 v4, a[0:1] offset:96
.LBB0_7:
	s_or_b64 exec, exec, s[8:9]
	v_add_u32_e32 v7, 0x15f, v166
	s_movk_i32 s10, 0x4ec5
	s_mov_b64 s[8:9], 0xea
	v_add_u32_e32 v1, 0x1d4, v166
	v_mul_u32_u24_sdwa v0, v7, s10 dst_sel:DWORD dst_unused:UNUSED_PAD src0_sel:WORD_0 src1_sel:DWORD
	v_lshl_add_u64 v[78:79], v[166:167], 0, s[8:9]
	s_movk_i32 s8, 0x4f
	v_lshrrev_b32_e32 v5, 18, v0
	v_mul_u32_u24_sdwa v0, v1, s10 dst_sel:DWORD dst_unused:UNUSED_PAD src0_sel:WORD_0 src1_sel:DWORD
	v_mul_lo_u16_sdwa v2, v76, s8 dst_sel:DWORD dst_unused:UNUSED_PAD src0_sel:BYTE_0 src1_sel:DWORD
	v_lshrrev_b32_e32 v6, 18, v0
	v_lshrrev_b16_e32 v50, 10, v2
	v_mul_lo_u16_e32 v0, 13, v6
	v_mul_lo_u16_e32 v2, 13, v50
	v_sub_u16_e32 v12, v1, v0
	v_sub_u16_e32 v2, v76, v2
	v_lshlrev_b16_e32 v0, 1, v12
	v_and_b32_e32 v51, 0xff, v2
	v_lshlrev_b32_e32 v0, 3, v0
	v_lshlrev_b32_e32 v2, 4, v51
	s_waitcnt lgkmcnt(0)
	s_barrier
	global_load_dwordx4 v[36:39], v0, s[0:1]
	global_load_dwordx4 v[24:27], v2, s[0:1]
	v_mul_lo_u16_e32 v0, 13, v5
	v_sub_u16_e32 v13, v7, v0
	v_lshlrev_b16_e32 v0, 1, v13
	v_lshlrev_b32_e32 v0, 3, v0
	global_load_dwordx4 v[32:35], v0, s[0:1]
	v_mul_u32_u24_sdwa v0, v78, s10 dst_sel:DWORD dst_unused:UNUSED_PAD src0_sel:WORD_0 src1_sel:DWORD
	v_lshrrev_b32_e32 v14, 18, v0
	v_mul_lo_u16_e32 v0, 13, v14
	v_sub_u16_e32 v15, v78, v0
	v_lshlrev_b16_e32 v0, 1, v15
	v_lshlrev_b32_e32 v0, 3, v0
	global_load_dwordx4 v[28:31], v0, s[0:1]
	v_mul_lo_u16_sdwa v0, v166, s8 dst_sel:DWORD dst_unused:UNUSED_PAD src0_sel:BYTE_0 src1_sel:DWORD
	v_lshrrev_b16_e32 v52, 10, v0
	v_mul_lo_u16_e32 v0, 13, v52
	v_sub_u16_e32 v0, v166, v0
	v_and_b32_e32 v53, 0xff, v0
	v_lshlrev_b32_e32 v0, 4, v53
	global_load_dwordx4 v[20:23], v0, s[0:1]
	v_add_u32_e32 v3, 0xc00, v128
	ds_read_b64 v[48:49], v128 offset:13104
	v_add_u32_e32 v4, 0x1c00, v128
	v_add_u32_e32 v0, 0x400, v128
	;; [unrolled: 1-line block ×3, first 2 shown]
	ds_read2_b64 v[8:11], v3 offset0:84 offset1:201
	ds_read2_b64 v[16:19], v4 offset0:40 offset1:157
	;; [unrolled: 1-line block ×4, first 2 shown]
	v_mul_u32_u24_e32 v50, 39, v50
	v_mad_legacy_u16 v6, v6, 39, v12
	v_lshlrev_b32_e32 v64, 3, v166
	v_mov_b32_e32 v65, 0
	v_mul_u32_u24_e32 v52, 39, v52
	v_mad_legacy_u16 v5, v5, 39, v13
	v_add_lshl_u32 v13, v50, v51, 3
	v_lshlrev_b32_e32 v167, 3, v6
	v_lshl_add_u64 v[104:105], s[16:17], 0, v[64:65]
	v_add_lshl_u32 v64, v52, v53, 3
	s_mov_b32 s8, 0x3f5db3d7
	v_lshlrev_b32_e32 v172, 3, v5
	v_add_u32_e32 v5, 0x1400, v128
	v_mad_legacy_u16 v12, v14, 39, v15
	v_lshlrev_b32_e32 v173, 3, v12
	v_accvgpr_write_b32 a13, v13
	v_accvgpr_write_b32 a23, v64
	s_mov_b32 s10, 0x3f737871
	s_waitcnt vmcnt(4) lgkmcnt(2)
	v_pk_mul_f32 v[50:51], v[18:19], v[36:37] op_sel:[0,1]
	v_mov_b32_e32 v6, v39
	v_pk_fma_f32 v[52:53], v[18:19], v[36:37], v[50:51] op_sel:[0,0,1] op_sel_hi:[1,1,0] neg_lo:[0,0,1] neg_hi:[0,0,1]
	v_pk_fma_f32 v[18:19], v[18:19], v[36:37], v[50:51] op_sel:[0,0,1] op_sel_hi:[1,0,0]
	v_pk_mul_f32 v[50:51], v[48:49], v[6:7] op_sel_hi:[1,0]
	v_mov_b32_e32 v53, v19
	s_waitcnt vmcnt(2)
	v_pk_mul_f32 v[54:55], v[16:17], v[32:33] op_sel:[0,1]
	v_mov_b32_e32 v6, v35
	v_pk_fma_f32 v[56:57], v[48:49], v[38:39], v[50:51] op_sel:[0,0,1] op_sel_hi:[1,1,0] neg_lo:[0,0,1] neg_hi:[0,0,1]
	v_pk_fma_f32 v[18:19], v[48:49], v[38:39], v[50:51] op_sel:[0,0,1] op_sel_hi:[1,0,0]
	v_pk_fma_f32 v[58:59], v[16:17], v[32:33], v[54:55] op_sel:[0,0,1] op_sel_hi:[1,1,0] neg_lo:[0,0,1] neg_hi:[0,0,1]
	v_pk_fma_f32 v[16:17], v[16:17], v[32:33], v[54:55] op_sel:[0,0,1] op_sel_hi:[1,0,0]
	s_waitcnt lgkmcnt(0)
	v_pk_mul_f32 v[48:49], v[46:47], v[6:7] op_sel_hi:[1,0]
	v_mov_b32_e32 v57, v19
	v_mov_b32_e32 v59, v17
	v_pk_fma_f32 v[54:55], v[46:47], v[34:35], v[48:49] op_sel:[0,0,1] op_sel_hi:[1,1,0] neg_lo:[0,0,1] neg_hi:[0,0,1]
	v_pk_fma_f32 v[16:17], v[46:47], v[34:35], v[48:49] op_sel:[0,0,1] op_sel_hi:[1,0,0]
	v_pk_add_f32 v[18:19], v[52:53], v[56:57]
	v_pk_add_f32 v[46:47], v[52:53], v[56:57] neg_lo:[0,1] neg_hi:[0,1]
	v_mov_b32_e32 v55, v17
	v_pk_fma_f32 v[16:17], v[18:19], 0.5, v[8:9] op_sel_hi:[1,0,1] neg_lo:[1,0,0] neg_hi:[1,0,0]
	v_pk_mul_f32 v[18:19], v[46:47], s[8:9] op_sel_hi:[1,0]
	v_pk_add_f32 v[46:47], v[58:59], v[54:55]
	v_pk_add_f32 v[60:61], v[16:17], v[18:19] op_sel:[0,1] op_sel_hi:[1,0] neg_lo:[0,1] neg_hi:[0,1]
	v_pk_add_f32 v[62:63], v[16:17], v[18:19] op_sel:[0,1] op_sel_hi:[1,0]
	ds_read2_b64 v[16:19], v5 offset0:62 offset1:179
	v_pk_add_f32 v[48:49], v[58:59], v[54:55] neg_lo:[0,1] neg_hi:[0,1]
	v_pk_fma_f32 v[46:47], v[46:47], 0.5, v[42:43] op_sel_hi:[1,0,1] neg_lo:[1,0,0] neg_hi:[1,0,0]
	v_pk_mul_f32 v[48:49], v[48:49], s[8:9] op_sel_hi:[1,0]
	s_waitcnt vmcnt(1)
	v_mov_b32_e32 v6, v31
	v_pk_add_f32 v[66:67], v[46:47], v[48:49] op_sel:[0,1] op_sel_hi:[1,0] neg_lo:[0,1] neg_hi:[0,1]
	v_pk_add_f32 v[68:69], v[46:47], v[48:49] op_sel:[0,1] op_sel_hi:[1,0]
	s_waitcnt lgkmcnt(0)
	v_pk_mul_f32 v[46:47], v[18:19], v[28:29] op_sel:[0,1]
	v_pk_mul_f32 v[80:81], v[16:17], v[24:25] op_sel:[0,1]
	v_pk_fma_f32 v[70:71], v[18:19], v[28:29], v[46:47] op_sel:[0,0,1] op_sel_hi:[1,1,0] neg_lo:[0,0,1] neg_hi:[0,0,1]
	v_pk_fma_f32 v[18:19], v[18:19], v[28:29], v[46:47] op_sel:[0,0,1] op_sel_hi:[1,0,0]
	v_pk_fma_f32 v[82:83], v[16:17], v[24:25], v[80:81] op_sel:[0,0,1] op_sel_hi:[1,1,0] neg_lo:[0,0,1] neg_hi:[0,0,1]
	v_mov_b32_e32 v71, v19
	v_pk_mul_f32 v[18:19], v[44:45], v[6:7] op_sel_hi:[1,0]
	v_add_u32_e32 v6, 0x2400, v128
	ds_read2_b64 v[48:51], v6 offset0:18 offset1:135
	v_pk_fma_f32 v[16:17], v[16:17], v[24:25], v[80:81] op_sel:[0,0,1] op_sel_hi:[1,0,0]
	v_pk_fma_f32 v[72:73], v[44:45], v[30:31], v[18:19] op_sel:[0,0,1] op_sel_hi:[1,1,0] neg_lo:[0,0,1] neg_hi:[0,0,1]
	v_pk_fma_f32 v[18:19], v[44:45], v[30:31], v[18:19] op_sel:[0,0,1] op_sel_hi:[1,0,0]
	v_mov_b32_e32 v16, v27
	v_mov_b32_e32 v73, v19
	v_mov_b32_e32 v83, v17
	s_waitcnt lgkmcnt(0)
	v_pk_mul_f32 v[16:17], v[50:51], v[16:17] op_sel_hi:[1,0]
	v_pk_add_f32 v[18:19], v[70:71], v[72:73]
	v_pk_add_f32 v[44:45], v[70:71], v[72:73] neg_lo:[0,1] neg_hi:[0,1]
	v_pk_fma_f32 v[80:81], v[50:51], v[26:27], v[16:17] op_sel:[0,0,1] op_sel_hi:[1,1,0] neg_lo:[0,0,1] neg_hi:[0,0,1]
	v_pk_fma_f32 v[16:17], v[50:51], v[26:27], v[16:17] op_sel:[0,0,1] op_sel_hi:[1,0,0]
	s_waitcnt vmcnt(0)
	v_pk_mul_f32 v[50:51], v[10:11], v[20:21] op_sel:[0,1]
	v_pk_fma_f32 v[18:19], v[18:19], 0.5, v[40:41] op_sel_hi:[1,0,1] neg_lo:[1,0,0] neg_hi:[1,0,0]
	v_pk_mul_f32 v[44:45], v[44:45], s[8:9] op_sel_hi:[1,0]
	v_pk_fma_f32 v[84:85], v[10:11], v[20:21], v[50:51] op_sel:[0,0,1] op_sel_hi:[1,1,0] neg_lo:[0,0,1] neg_hi:[0,0,1]
	v_pk_fma_f32 v[10:11], v[10:11], v[20:21], v[50:51] op_sel:[0,0,1] op_sel_hi:[1,0,0]
	v_pk_add_f32 v[74:75], v[18:19], v[44:45] op_sel:[0,1] op_sel_hi:[1,0] neg_lo:[0,1] neg_hi:[0,1]
	v_pk_add_f32 v[18:19], v[18:19], v[44:45] op_sel:[0,1] op_sel_hi:[1,0]
	ds_read2_b64 v[44:47], v128 offset1:117
	v_mov_b32_e32 v10, v23
	v_mov_b32_e32 v85, v11
	v_pk_mul_f32 v[10:11], v[48:49], v[10:11] op_sel_hi:[1,0]
	v_mov_b32_e32 v81, v17
	v_pk_fma_f32 v[50:51], v[48:49], v[22:23], v[10:11] op_sel:[0,0,1] op_sel_hi:[1,1,0] neg_lo:[0,0,1] neg_hi:[0,0,1]
	v_pk_fma_f32 v[10:11], v[48:49], v[22:23], v[10:11] op_sel:[0,0,1] op_sel_hi:[1,0,0]
	s_waitcnt lgkmcnt(0)
	v_mov_b32_e32 v51, v11
	v_pk_add_f32 v[48:49], v[84:85], v[50:51]
	v_pk_add_f32 v[10:11], v[44:45], v[84:85]
	v_pk_fma_f32 v[44:45], v[48:49], 0.5, v[44:45] op_sel_hi:[1,0,1] neg_lo:[1,0,0] neg_hi:[1,0,0]
	v_pk_add_f32 v[48:49], v[84:85], v[50:51] neg_lo:[0,1] neg_hi:[0,1]
	v_pk_add_f32 v[10:11], v[10:11], v[50:51]
	v_pk_mul_f32 v[48:49], v[48:49], s[8:9] op_sel_hi:[1,0]
	s_barrier
	v_pk_add_f32 v[50:51], v[44:45], v[48:49] op_sel:[0,1] op_sel_hi:[1,0]
	v_pk_add_f32 v[44:45], v[44:45], v[48:49] op_sel:[0,1] op_sel_hi:[1,0] neg_lo:[0,1] neg_hi:[0,1]
	v_mov_b32_e32 v48, v50
	v_mov_b32_e32 v49, v45
	;; [unrolled: 1-line block ×3, first 2 shown]
	ds_write2_b64 v64, v[10:11], v[48:49] offset1:13
	ds_write_b64 v64, v[44:45] offset:208
	v_pk_add_f32 v[10:11], v[82:83], v[80:81]
	v_pk_add_f32 v[44:45], v[82:83], v[80:81] neg_lo:[0,1] neg_hi:[0,1]
	v_pk_fma_f32 v[10:11], v[10:11], 0.5, v[46:47] op_sel_hi:[1,0,1] neg_lo:[1,0,0] neg_hi:[1,0,0]
	v_pk_mul_f32 v[44:45], v[44:45], s[8:9] op_sel_hi:[1,0]
	v_pk_add_f32 v[16:17], v[46:47], v[82:83]
	v_pk_add_f32 v[46:47], v[10:11], v[44:45] op_sel:[0,1] op_sel_hi:[1,0]
	v_pk_add_f32 v[10:11], v[10:11], v[44:45] op_sel:[0,1] op_sel_hi:[1,0] neg_lo:[0,1] neg_hi:[0,1]
	v_pk_add_f32 v[16:17], v[16:17], v[80:81]
	v_mov_b32_e32 v45, v11
	v_mov_b32_e32 v11, v47
	;; [unrolled: 1-line block ×3, first 2 shown]
	ds_write_b64 v13, v[10:11] offset:208
	v_pk_add_f32 v[10:11], v[40:41], v[70:71]
	ds_write2_b64 v13, v[16:17], v[44:45] offset1:13
	v_pk_add_f32 v[10:11], v[10:11], v[72:73]
	v_mov_b32_e32 v16, v18
	v_mov_b32_e32 v17, v75
	ds_write2_b64 v173, v[10:11], v[16:17] offset1:13
	v_pk_add_f32 v[10:11], v[42:43], v[58:59]
	v_mov_b32_e32 v75, v19
	v_pk_add_f32 v[10:11], v[10:11], v[54:55]
	v_mov_b32_e32 v16, v68
	v_mov_b32_e32 v17, v67
	v_pk_add_f32 v[8:9], v[8:9], v[52:53]
	ds_write_b64 v173, v[74:75] offset:208
	ds_write2_b64 v172, v[10:11], v[16:17] offset1:13
	v_mov_b32_e32 v67, v69
	v_pk_add_f32 v[8:9], v[8:9], v[56:57]
	v_mov_b32_e32 v10, v62
	v_mov_b32_e32 v11, v61
	s_mov_b32 s9, 0xa41b
	ds_write_b64 v172, v[66:67] offset:208
	ds_write2_b64 v167, v[8:9], v[10:11] offset1:13
	v_mul_u32_u24_sdwa v8, v78, s9 dst_sel:DWORD dst_unused:UNUSED_PAD src0_sel:WORD_0 src1_sel:DWORD
	v_sub_u16_sdwa v9, v78, v8 dst_sel:DWORD dst_unused:UNUSED_PAD src0_sel:DWORD src1_sel:WORD_1
	v_mul_u32_u24_sdwa v10, v7, s9 dst_sel:DWORD dst_unused:UNUSED_PAD src0_sel:WORD_0 src1_sel:DWORD
	v_lshrrev_b16_e32 v9, 1, v9
	v_sub_u16_sdwa v11, v7, v10 dst_sel:DWORD dst_unused:UNUSED_PAD src0_sel:DWORD src1_sel:WORD_1
	v_mul_u32_u24_sdwa v16, v1, s9 dst_sel:DWORD dst_unused:UNUSED_PAD src0_sel:WORD_0 src1_sel:DWORD
	v_add_u16_sdwa v8, v9, v8 dst_sel:DWORD dst_unused:UNUSED_PAD src0_sel:DWORD src1_sel:WORD_1
	v_lshrrev_b16_e32 v11, 1, v11
	v_sub_u16_sdwa v17, v1, v16 dst_sel:DWORD dst_unused:UNUSED_PAD src0_sel:DWORD src1_sel:WORD_1
	v_lshrrev_b16_e32 v12, 5, v8
	v_add_u16_sdwa v10, v11, v10 dst_sel:DWORD dst_unused:UNUSED_PAD src0_sel:DWORD src1_sel:WORD_1
	v_lshrrev_b16_e32 v17, 1, v17
	v_mul_lo_u16_e32 v8, 39, v12
	v_lshrrev_b16_e32 v14, 5, v10
	v_add_u16_sdwa v16, v17, v16 dst_sel:DWORD dst_unused:UNUSED_PAD src0_sel:DWORD src1_sel:WORD_1
	v_sub_u16_e32 v13, v78, v8
	v_mul_lo_u16_e32 v10, 39, v14
	v_lshrrev_b16_e32 v18, 5, v16
	v_lshlrev_b16_e32 v64, 4, v13
	v_sub_u16_e32 v15, v7, v10
	v_mul_lo_u16_e32 v16, 39, v18
	v_lshl_add_u64 v[8:9], s[0:1], 0, v[64:65]
	v_lshlrev_b16_e32 v64, 4, v15
	v_sub_u16_e32 v19, v1, v16
	v_lshl_add_u64 v[10:11], s[0:1], 0, v[64:65]
	v_lshlrev_b16_e32 v64, 4, v19
	v_mov_b32_e32 v61, v63
	v_lshl_add_u64 v[16:17], s[0:1], 0, v[64:65]
	ds_write_b64 v167, v[60:61] offset:208
	s_waitcnt lgkmcnt(0)
	s_barrier
	global_load_dwordx4 v[60:63], v[16:17], off offset:208
	global_load_dwordx4 v[52:55], v[10:11], off offset:208
	;; [unrolled: 1-line block ×3, first 2 shown]
	s_movk_i32 s9, 0xa5
	v_mul_lo_u16_sdwa v9, v76, s9 dst_sel:DWORD dst_unused:UNUSED_PAD src0_sel:BYTE_0 src1_sel:DWORD
	v_sub_u16_sdwa v10, v76, v9 dst_sel:DWORD dst_unused:UNUSED_PAD src0_sel:DWORD src1_sel:BYTE_1
	v_lshrrev_b16_e32 v10, 1, v10
	v_and_b32_e32 v10, 0x7f, v10
	v_add_u16_sdwa v9, v10, v9 dst_sel:DWORD dst_unused:UNUSED_PAD src0_sel:DWORD src1_sel:BYTE_1
	v_lshrrev_b16_e32 v9, 5, v9
	v_and_b32_e32 v9, 7, v9
	v_mul_lo_u16_e32 v10, 39, v9
	v_sub_u16_e32 v10, v76, v10
	v_and_b32_e32 v10, 0xff, v10
	v_mul_lo_u16_sdwa v8, v166, s9 dst_sel:DWORD dst_unused:UNUSED_PAD src0_sel:BYTE_0 src1_sel:DWORD
	v_lshlrev_b32_e32 v11, 4, v10
	global_load_dwordx4 v[44:47], v11, s[0:1] offset:208
	v_sub_u16_sdwa v11, v166, v8 dst_sel:DWORD dst_unused:UNUSED_PAD src0_sel:DWORD src1_sel:BYTE_1
	v_lshrrev_b16_e32 v11, 1, v11
	v_and_b32_e32 v11, 0x7f, v11
	v_add_u16_sdwa v8, v11, v8 dst_sel:DWORD dst_unused:UNUSED_PAD src0_sel:DWORD src1_sel:BYTE_1
	v_lshrrev_b16_e32 v8, 5, v8
	v_and_b32_e32 v8, 7, v8
	v_mul_lo_u16_e32 v11, 39, v8
	v_sub_u16_e32 v11, v166, v11
	v_and_b32_e32 v11, 0xff, v11
	v_lshlrev_b32_e32 v16, 4, v11
	global_load_dwordx4 v[40:43], v16, s[0:1] offset:208
	s_movk_i32 s9, 0x75
	v_mul_u32_u24_sdwa v8, v8, s9 dst_sel:DWORD dst_unused:UNUSED_PAD src0_sel:WORD_0 src1_sel:DWORD
	v_add_lshl_u32 v79, v8, v11, 3
	v_mul_u32_u24_sdwa v8, v9, s9 dst_sel:DWORD dst_unused:UNUSED_PAD src0_sel:WORD_0 src1_sel:DWORD
	v_add_lshl_u32 v77, v8, v10, 3
	v_mad_legacy_u16 v8, v12, s9, v13
	v_lshlrev_b32_e32 v64, 3, v8
	v_mad_legacy_u16 v8, v14, s9, v15
	v_lshlrev_b32_e32 v13, 3, v8
	ds_read2_b64 v[8:11], v4 offset0:40 offset1:157
	v_mad_legacy_u16 v12, v18, s9, v19
	ds_read2_b64 v[16:19], v3 offset0:84 offset1:201
	ds_read_b64 v[56:57], v128 offset:13104
	v_lshlrev_b32_e32 v12, 3, v12
	v_accvgpr_write_b32 a49, v13
	v_accvgpr_write_b32 a48, v12
	;; [unrolled: 1-line block ×5, first 2 shown]
	s_waitcnt vmcnt(4) lgkmcnt(2)
	v_pk_mul_f32 v[58:59], v[10:11], v[60:61] op_sel:[0,1]
	s_nop 0
	v_pk_fma_f32 v[74:75], v[10:11], v[60:61], v[58:59] op_sel:[0,0,1] op_sel_hi:[1,1,0] neg_lo:[0,0,1] neg_hi:[0,0,1]
	v_pk_fma_f32 v[10:11], v[10:11], v[60:61], v[58:59] op_sel:[0,0,1] op_sel_hi:[1,0,0]
	s_nop 0
	v_mov_b32_e32 v10, v63
	v_mov_b32_e32 v75, v11
	s_waitcnt lgkmcnt(0)
	v_pk_mul_f32 v[10:11], v[56:57], v[10:11] op_sel_hi:[1,0]
	s_nop 0
	v_pk_fma_f32 v[80:81], v[56:57], v[62:63], v[10:11] op_sel:[0,0,1] op_sel_hi:[1,1,0] neg_lo:[0,0,1] neg_hi:[0,0,1]
	v_pk_fma_f32 v[10:11], v[56:57], v[62:63], v[10:11] op_sel:[0,0,1] op_sel_hi:[1,0,0]
	s_nop 0
	v_mov_b32_e32 v81, v11
	v_pk_add_f32 v[10:11], v[74:75], v[80:81]
	v_pk_add_f32 v[56:57], v[74:75], v[80:81] neg_lo:[0,1] neg_hi:[0,1]
	v_pk_fma_f32 v[10:11], v[10:11], 0.5, v[16:17] op_sel_hi:[1,0,1] neg_lo:[1,0,0] neg_hi:[1,0,0]
	v_pk_mul_f32 v[56:57], v[56:57], s[8:9] op_sel_hi:[1,0]
	s_nop 0
	v_pk_add_f32 v[82:83], v[10:11], v[56:57] op_sel:[0,1] op_sel_hi:[1,0] neg_lo:[0,1] neg_hi:[0,1]
	v_pk_add_f32 v[84:85], v[10:11], v[56:57] op_sel:[0,1] op_sel_hi:[1,0]
	ds_read2_b64 v[56:59], v0 offset0:106 offset1:223
	ds_read2_b64 v[66:69], v2 offset0:124 offset1:241
	s_waitcnt vmcnt(3)
	v_pk_mul_f32 v[10:11], v[8:9], v[52:53] op_sel:[0,1]
	s_nop 0
	v_pk_fma_f32 v[86:87], v[8:9], v[52:53], v[10:11] op_sel:[0,0,1] op_sel_hi:[1,1,0] neg_lo:[0,0,1] neg_hi:[0,0,1]
	v_pk_fma_f32 v[8:9], v[8:9], v[52:53], v[10:11] op_sel:[0,0,1] op_sel_hi:[1,0,0]
	s_nop 0
	v_mov_b32_e32 v8, v55
	v_mov_b32_e32 v87, v9
	s_waitcnt lgkmcnt(0)
	v_pk_mul_f32 v[8:9], v[68:69], v[8:9] op_sel_hi:[1,0]
	s_nop 0
	v_pk_fma_f32 v[88:89], v[68:69], v[54:55], v[8:9] op_sel:[0,0,1] op_sel_hi:[1,1,0] neg_lo:[0,0,1] neg_hi:[0,0,1]
	v_pk_fma_f32 v[8:9], v[68:69], v[54:55], v[8:9] op_sel:[0,0,1] op_sel_hi:[1,0,0]
	s_nop 0
	v_mov_b32_e32 v89, v9
	v_pk_add_f32 v[8:9], v[86:87], v[88:89]
	v_pk_add_f32 v[70:71], v[86:87], v[88:89] neg_lo:[0,1] neg_hi:[0,1]
	v_pk_fma_f32 v[68:69], v[8:9], 0.5, v[58:59] op_sel_hi:[1,0,1] neg_lo:[1,0,0] neg_hi:[1,0,0]
	ds_read2_b64 v[8:11], v5 offset0:62 offset1:179
	v_pk_mul_f32 v[70:71], v[70:71], s[8:9] op_sel_hi:[1,0]
	s_waitcnt vmcnt(1) lgkmcnt(0)
	v_pk_mul_f32 v[100:101], v[8:9], v[44:45] op_sel:[0,1]
	v_pk_add_f32 v[90:91], v[68:69], v[70:71] op_sel:[0,1] op_sel_hi:[1,0] neg_lo:[0,1] neg_hi:[0,1]
	v_pk_add_f32 v[92:93], v[68:69], v[70:71] op_sel:[0,1] op_sel_hi:[1,0]
	v_pk_mul_f32 v[68:69], v[10:11], v[48:49] op_sel:[0,1]
	v_pk_fma_f32 v[102:103], v[8:9], v[44:45], v[100:101] op_sel:[0,0,1] op_sel_hi:[1,1,0] neg_lo:[0,0,1] neg_hi:[0,0,1]
	v_pk_fma_f32 v[94:95], v[10:11], v[48:49], v[68:69] op_sel:[0,0,1] op_sel_hi:[1,1,0] neg_lo:[0,0,1] neg_hi:[0,0,1]
	v_pk_fma_f32 v[10:11], v[10:11], v[48:49], v[68:69] op_sel:[0,0,1] op_sel_hi:[1,0,0]
	v_pk_fma_f32 v[8:9], v[8:9], v[44:45], v[100:101] op_sel:[0,0,1] op_sel_hi:[1,0,0]
	v_mov_b32_e32 v10, v51
	v_mov_b32_e32 v95, v11
	v_pk_mul_f32 v[10:11], v[66:67], v[10:11] op_sel_hi:[1,0]
	v_mov_b32_e32 v8, v47
	v_pk_fma_f32 v[96:97], v[66:67], v[50:51], v[10:11] op_sel:[0,0,1] op_sel_hi:[1,1,0] neg_lo:[0,0,1] neg_hi:[0,0,1]
	v_pk_fma_f32 v[10:11], v[66:67], v[50:51], v[10:11] op_sel:[0,0,1] op_sel_hi:[1,0,0]
	v_mov_b32_e32 v103, v9
	v_mov_b32_e32 v97, v11
	v_pk_add_f32 v[10:11], v[94:95], v[96:97]
	v_pk_add_f32 v[66:67], v[94:95], v[96:97] neg_lo:[0,1] neg_hi:[0,1]
	v_pk_fma_f32 v[10:11], v[10:11], 0.5, v[56:57] op_sel_hi:[1,0,1] neg_lo:[1,0,0] neg_hi:[1,0,0]
	v_pk_mul_f32 v[66:67], v[66:67], s[8:9] op_sel_hi:[1,0]
	s_nop 0
	v_pk_add_f32 v[98:99], v[10:11], v[66:67] op_sel:[0,1] op_sel_hi:[1,0] neg_lo:[0,1] neg_hi:[0,1]
	v_pk_add_f32 v[10:11], v[10:11], v[66:67] op_sel:[0,1] op_sel_hi:[1,0]
	ds_read2_b64 v[66:69], v128 offset1:117
	ds_read2_b64 v[70:73], v6 offset0:18 offset1:135
	s_waitcnt lgkmcnt(0)
	s_barrier
	v_pk_mul_f32 v[8:9], v[72:73], v[8:9] op_sel_hi:[1,0]
	s_nop 0
	v_pk_fma_f32 v[100:101], v[72:73], v[46:47], v[8:9] op_sel:[0,0,1] op_sel_hi:[1,1,0] neg_lo:[0,0,1] neg_hi:[0,0,1]
	v_pk_fma_f32 v[8:9], v[72:73], v[46:47], v[8:9] op_sel:[0,0,1] op_sel_hi:[1,0,0]
	s_waitcnt vmcnt(0)
	v_pk_mul_f32 v[72:73], v[18:19], v[40:41] op_sel:[0,1]
	v_mov_b32_e32 v101, v9
	v_pk_fma_f32 v[106:107], v[18:19], v[40:41], v[72:73] op_sel:[0,0,1] op_sel_hi:[1,1,0] neg_lo:[0,0,1] neg_hi:[0,0,1]
	v_pk_fma_f32 v[18:19], v[18:19], v[40:41], v[72:73] op_sel:[0,0,1] op_sel_hi:[1,0,0]
	v_pk_add_f32 v[8:9], v[68:69], v[102:103]
	v_mov_b32_e32 v18, v43
	v_mov_b32_e32 v107, v19
	v_pk_mul_f32 v[18:19], v[70:71], v[18:19] op_sel_hi:[1,0]
	v_pk_add_f32 v[8:9], v[8:9], v[100:101]
	v_pk_fma_f32 v[72:73], v[70:71], v[42:43], v[18:19] op_sel:[0,0,1] op_sel_hi:[1,1,0] neg_lo:[0,0,1] neg_hi:[0,0,1]
	v_pk_fma_f32 v[18:19], v[70:71], v[42:43], v[18:19] op_sel:[0,0,1] op_sel_hi:[1,0,0]
	s_nop 0
	v_mov_b32_e32 v73, v19
	v_pk_add_f32 v[70:71], v[106:107], v[72:73]
	v_pk_add_f32 v[18:19], v[66:67], v[106:107]
	v_pk_fma_f32 v[66:67], v[70:71], 0.5, v[66:67] op_sel_hi:[1,0,1] neg_lo:[1,0,0] neg_hi:[1,0,0]
	v_pk_add_f32 v[70:71], v[106:107], v[72:73] neg_lo:[0,1] neg_hi:[0,1]
	v_pk_add_f32 v[18:19], v[18:19], v[72:73]
	v_pk_mul_f32 v[70:71], v[70:71], s[8:9] op_sel_hi:[1,0]
	s_nop 0
	v_pk_add_f32 v[72:73], v[66:67], v[70:71] op_sel:[0,1] op_sel_hi:[1,0]
	v_pk_add_f32 v[66:67], v[66:67], v[70:71] op_sel:[0,1] op_sel_hi:[1,0] neg_lo:[0,1] neg_hi:[0,1]
	v_mov_b32_e32 v70, v72
	v_mov_b32_e32 v71, v67
	;; [unrolled: 1-line block ×3, first 2 shown]
	ds_write2_b64 v79, v[18:19], v[70:71] offset1:39
	ds_write_b64 v79, v[66:67] offset:624
	v_pk_add_f32 v[18:19], v[102:103], v[100:101]
	v_pk_add_f32 v[66:67], v[102:103], v[100:101] neg_lo:[0,1] neg_hi:[0,1]
	v_pk_fma_f32 v[18:19], v[18:19], 0.5, v[68:69] op_sel_hi:[1,0,1] neg_lo:[1,0,0] neg_hi:[1,0,0]
	v_pk_mul_f32 v[66:67], v[66:67], s[8:9] op_sel_hi:[1,0]
	s_mov_b32 s9, 0x8c09
	v_pk_add_f32 v[68:69], v[18:19], v[66:67] op_sel:[0,1] op_sel_hi:[1,0]
	v_pk_add_f32 v[18:19], v[18:19], v[66:67] op_sel:[0,1] op_sel_hi:[1,0] neg_lo:[0,1] neg_hi:[0,1]
	v_mov_b32_e32 v66, v68
	v_mov_b32_e32 v67, v19
	ds_write2_b64 v77, v[8:9], v[66:67] offset1:39
	v_mov_b32_e32 v19, v69
	v_pk_add_f32 v[8:9], v[56:57], v[94:95]
	ds_write_b64 v77, v[18:19] offset:624
	v_pk_add_f32 v[8:9], v[8:9], v[96:97]
	v_mov_b32_e32 v18, v10
	v_mov_b32_e32 v19, v99
	ds_write2_b64 v64, v[8:9], v[18:19] offset1:39
	v_pk_add_f32 v[8:9], v[58:59], v[86:87]
	v_mov_b32_e32 v99, v11
	v_pk_add_f32 v[8:9], v[8:9], v[88:89]
	v_mov_b32_e32 v10, v92
	v_mov_b32_e32 v11, v91
	ds_write_b64 v64, v[98:99] offset:624
	ds_write2_b64 v13, v[8:9], v[10:11] offset1:39
	v_pk_add_f32 v[8:9], v[16:17], v[74:75]
	v_mov_b32_e32 v91, v93
	v_pk_add_f32 v[8:9], v[8:9], v[80:81]
	v_mov_b32_e32 v10, v84
	v_mov_b32_e32 v11, v83
	ds_write_b64 v13, v[90:91] offset:624
	ds_write2_b64 v12, v[8:9], v[10:11] offset1:39
	v_mov_b32_e32 v83, v85
	v_lshlrev_b32_e32 v8, 4, v166
	ds_write_b64 v12, v[82:83] offset:624
	s_waitcnt lgkmcnt(0)
	s_barrier
	global_load_dwordx4 v[56:59], v8, s[0:1] offset:832
	v_mul_u32_u24_sdwa v8, v78, s9 dst_sel:DWORD dst_unused:UNUSED_PAD src0_sel:WORD_0 src1_sel:DWORD
	v_lshrrev_b32_e32 v8, 22, v8
	v_mul_u32_u24_sdwa v10, v7, s9 dst_sel:DWORD dst_unused:UNUSED_PAD src0_sel:WORD_0 src1_sel:DWORD
	v_mul_lo_u16_e32 v8, 0x75, v8
	v_lshrrev_b32_e32 v10, 22, v10
	v_mul_u32_u24_sdwa v13, v1, s9 dst_sel:DWORD dst_unused:UNUSED_PAD src0_sel:WORD_0 src1_sel:DWORD
	v_sub_u16_e32 v12, v78, v8
	v_mul_lo_u16_e32 v10, 0x75, v10
	v_lshrrev_b32_e32 v13, 22, v13
	v_lshlrev_b16_e32 v64, 4, v12
	v_sub_u16_e32 v7, v7, v10
	v_mul_lo_u16_e32 v13, 0x75, v13
	v_lshl_add_u64 v[8:9], s[0:1], 0, v[64:65]
	v_lshlrev_b16_e32 v64, 4, v7
	v_sub_u16_e32 v1, v1, v13
	v_lshl_add_u64 v[10:11], s[0:1], 0, v[64:65]
	v_lshlrev_b16_e32 v64, 4, v1
	v_lshl_add_u64 v[16:17], s[0:1], 0, v[64:65]
	global_load_dwordx4 v[72:75], v[16:17], off offset:832
	global_load_dwordx4 v[68:71], v[10:11], off offset:832
	;; [unrolled: 1-line block ×3, first 2 shown]
	ds_read2_b64 v[8:11], v3 offset0:84 offset1:201
	ds_read2_b64 v[16:19], v128 offset1:117
	ds_read2_b64 v[80:83], v6 offset0:18 offset1:135
	v_lshlrev_b32_e32 v13, 3, v12
	v_lshlrev_b32_e32 v12, 3, v7
	;; [unrolled: 1-line block ×3, first 2 shown]
	v_add_u32_e32 v1, 0x1400, v13
	v_accvgpr_write_b32 a53, v7
	v_accvgpr_write_b32 a54, v12
	;; [unrolled: 1-line block ×3, first 2 shown]
	s_waitcnt vmcnt(3) lgkmcnt(2)
	v_pk_mul_f32 v[84:85], v[10:11], v[56:57] op_sel:[0,1]
	s_nop 0
	v_pk_fma_f32 v[86:87], v[10:11], v[56:57], v[84:85] op_sel:[0,0,1] op_sel_hi:[1,1,0] neg_lo:[0,0,1] neg_hi:[0,0,1]
	v_pk_fma_f32 v[10:11], v[10:11], v[56:57], v[84:85] op_sel:[0,0,1] op_sel_hi:[1,0,0]
	s_nop 0
	v_mov_b32_e32 v10, v59
	s_waitcnt lgkmcnt(0)
	v_pk_mul_f32 v[84:85], v[80:81], v[10:11] op_sel_hi:[1,0]
	v_mov_b32_e32 v87, v11
	v_pk_fma_f32 v[88:89], v[80:81], v[58:59], v[84:85] op_sel:[0,0,1] op_sel_hi:[1,1,0] neg_lo:[0,0,1] neg_hi:[0,0,1]
	v_pk_fma_f32 v[80:81], v[80:81], v[58:59], v[84:85] op_sel:[0,0,1] op_sel_hi:[1,0,0]
	v_pk_mul_f32 v[10:11], v[82:83], v[10:11] op_sel_hi:[1,0]
	v_mov_b32_e32 v89, v81
	v_pk_add_f32 v[80:81], v[86:87], v[88:89]
	v_pk_add_f32 v[84:85], v[86:87], v[88:89] neg_lo:[0,1] neg_hi:[0,1]
	v_pk_fma_f32 v[80:81], v[80:81], 0.5, v[16:17] op_sel_hi:[1,0,1] neg_lo:[1,0,0] neg_hi:[1,0,0]
	v_pk_mul_f32 v[84:85], v[84:85], s[8:9] op_sel_hi:[1,0]
	v_pk_add_f32 v[16:17], v[16:17], v[86:87]
	v_pk_add_f32 v[96:97], v[80:81], v[84:85] op_sel:[0,1] op_sel_hi:[1,0]
	v_pk_add_f32 v[80:81], v[80:81], v[84:85] op_sel:[0,1] op_sel_hi:[1,0] neg_lo:[0,1] neg_hi:[0,1]
	ds_read2_b64 v[84:87], v4 offset0:40 offset1:157
	v_pk_add_f32 v[16:17], v[16:17], v[88:89]
	ds_read_b64 v[88:89], v128 offset:13104
	s_waitcnt vmcnt(2) lgkmcnt(1)
	v_pk_mul_f32 v[90:91], v[86:87], v[72:73] op_sel:[0,1]
	s_nop 0
	v_pk_fma_f32 v[98:99], v[86:87], v[72:73], v[90:91] op_sel:[0,0,1] op_sel_hi:[1,1,0] neg_lo:[0,0,1] neg_hi:[0,0,1]
	v_pk_fma_f32 v[86:87], v[86:87], v[72:73], v[90:91] op_sel:[0,0,1] op_sel_hi:[1,0,0]
	s_waitcnt vmcnt(1)
	v_pk_mul_f32 v[94:95], v[84:85], v[68:69] op_sel:[0,1]
	v_mov_b32_e32 v86, v75
	v_mov_b32_e32 v99, v87
	s_waitcnt lgkmcnt(0)
	v_pk_mul_f32 v[86:87], v[88:89], v[86:87] op_sel_hi:[1,0]
	v_pk_fma_f32 v[108:109], v[84:85], v[68:69], v[94:95] op_sel:[0,0,1] op_sel_hi:[1,1,0] neg_lo:[0,0,1] neg_hi:[0,0,1]
	v_pk_fma_f32 v[100:101], v[88:89], v[74:75], v[86:87] op_sel:[0,0,1] op_sel_hi:[1,1,0] neg_lo:[0,0,1] neg_hi:[0,0,1]
	v_pk_fma_f32 v[86:87], v[88:89], v[74:75], v[86:87] op_sel:[0,0,1] op_sel_hi:[1,0,0]
	v_pk_fma_f32 v[84:85], v[84:85], v[68:69], v[94:95] op_sel:[0,0,1] op_sel_hi:[1,0,0]
	v_mov_b32_e32 v101, v87
	v_pk_add_f32 v[86:87], v[98:99], v[100:101]
	v_pk_add_f32 v[88:89], v[98:99], v[100:101] neg_lo:[0,1] neg_hi:[0,1]
	v_pk_fma_f32 v[86:87], v[86:87], 0.5, v[8:9] op_sel_hi:[1,0,1] neg_lo:[1,0,0] neg_hi:[1,0,0]
	v_pk_mul_f32 v[88:89], v[88:89], s[8:9] op_sel_hi:[1,0]
	v_mov_b32_e32 v84, v71
	v_pk_add_f32 v[102:103], v[86:87], v[88:89] op_sel:[0,1] op_sel_hi:[1,0] neg_lo:[0,1] neg_hi:[0,1]
	v_pk_add_f32 v[106:107], v[86:87], v[88:89] op_sel:[0,1] op_sel_hi:[1,0]
	ds_read2_b64 v[86:89], v0 offset0:106 offset1:223
	ds_read2_b64 v[90:93], v2 offset0:124 offset1:241
	v_mov_b32_e32 v109, v85
	v_pk_add_f32 v[8:9], v[8:9], v[98:99]
	s_waitcnt lgkmcnt(0)
	v_pk_mul_f32 v[84:85], v[92:93], v[84:85] op_sel_hi:[1,0]
	s_nop 0
	v_pk_fma_f32 v[110:111], v[92:93], v[70:71], v[84:85] op_sel:[0,0,1] op_sel_hi:[1,1,0] neg_lo:[0,0,1] neg_hi:[0,0,1]
	v_pk_fma_f32 v[84:85], v[92:93], v[70:71], v[84:85] op_sel:[0,0,1] op_sel_hi:[1,0,0]
	ds_read2_b64 v[92:95], v5 offset0:62 offset1:179
	v_mov_b32_e32 v111, v85
	v_pk_add_f32 v[84:85], v[108:109], v[110:111]
	v_pk_add_f32 v[112:113], v[108:109], v[110:111] neg_lo:[0,1] neg_hi:[0,1]
	v_pk_fma_f32 v[84:85], v[84:85], 0.5, v[88:89] op_sel_hi:[1,0,1] neg_lo:[1,0,0] neg_hi:[1,0,0]
	v_pk_mul_f32 v[112:113], v[112:113], s[8:9] op_sel_hi:[1,0]
	s_waitcnt lgkmcnt(0)
	v_pk_add_f32 v[114:115], v[84:85], v[112:113] op_sel:[0,1] op_sel_hi:[1,0] neg_lo:[0,1] neg_hi:[0,1]
	v_pk_add_f32 v[84:85], v[84:85], v[112:113] op_sel:[0,1] op_sel_hi:[1,0]
	s_waitcnt vmcnt(0)
	v_pk_mul_f32 v[112:113], v[94:95], v[64:65] op_sel:[0,1]
	s_barrier
	v_pk_fma_f32 v[116:117], v[94:95], v[64:65], v[112:113] op_sel:[0,0,1] op_sel_hi:[1,1,0] neg_lo:[0,0,1] neg_hi:[0,0,1]
	v_pk_fma_f32 v[94:95], v[94:95], v[64:65], v[112:113] op_sel:[0,0,1] op_sel_hi:[1,0,0]
	s_nop 0
	v_mov_b32_e32 v94, v67
	v_mov_b32_e32 v117, v95
	v_pk_mul_f32 v[94:95], v[90:91], v[94:95] op_sel_hi:[1,0]
	v_pk_add_f32 v[8:9], v[8:9], v[100:101]
	v_pk_fma_f32 v[112:113], v[90:91], v[66:67], v[94:95] op_sel:[0,0,1] op_sel_hi:[1,1,0] neg_lo:[0,0,1] neg_hi:[0,0,1]
	v_pk_fma_f32 v[90:91], v[90:91], v[66:67], v[94:95] op_sel:[0,0,1] op_sel_hi:[1,0,0]
	s_nop 0
	v_mov_b32_e32 v113, v91
	v_pk_add_f32 v[90:91], v[116:117], v[112:113]
	v_pk_add_f32 v[94:95], v[116:117], v[112:113] neg_lo:[0,1] neg_hi:[0,1]
	v_pk_fma_f32 v[90:91], v[90:91], 0.5, v[86:87] op_sel_hi:[1,0,1] neg_lo:[1,0,0] neg_hi:[1,0,0]
	v_pk_mul_f32 v[94:95], v[94:95], s[8:9] op_sel_hi:[1,0]
	s_nop 0
	v_pk_add_f32 v[118:119], v[90:91], v[94:95] op_sel:[0,1] op_sel_hi:[1,0] neg_lo:[0,1] neg_hi:[0,1]
	v_pk_add_f32 v[90:91], v[90:91], v[94:95] op_sel:[0,1] op_sel_hi:[1,0]
	v_pk_mul_f32 v[94:95], v[92:93], v[56:57] op_sel:[0,1]
	s_nop 0
	v_pk_fma_f32 v[120:121], v[92:93], v[56:57], v[94:95] op_sel:[0,0,1] op_sel_hi:[1,1,0] neg_lo:[0,0,1] neg_hi:[0,0,1]
	v_pk_fma_f32 v[92:93], v[92:93], v[56:57], v[94:95] op_sel:[0,0,1] op_sel_hi:[1,0,0]
	s_nop 0
	v_mov_b32_e32 v121, v93
	v_pk_fma_f32 v[92:93], v[82:83], v[58:59], v[10:11] op_sel:[0,0,1] op_sel_hi:[1,1,0] neg_lo:[0,0,1] neg_hi:[0,0,1]
	v_pk_fma_f32 v[10:11], v[82:83], v[58:59], v[10:11] op_sel:[0,0,1] op_sel_hi:[1,0,0]
	s_nop 0
	v_mov_b32_e32 v93, v11
	v_pk_add_f32 v[10:11], v[120:121], v[92:93]
	v_pk_add_f32 v[82:83], v[120:121], v[92:93] neg_lo:[0,1] neg_hi:[0,1]
	v_pk_fma_f32 v[10:11], v[10:11], 0.5, v[18:19] op_sel_hi:[1,0,1] neg_lo:[1,0,0] neg_hi:[1,0,0]
	v_pk_mul_f32 v[82:83], v[82:83], s[8:9] op_sel_hi:[1,0]
	s_mov_b32 s8, 0x3f167918
	v_pk_add_f32 v[94:95], v[10:11], v[82:83] op_sel:[0,1] op_sel_hi:[1,0] neg_lo:[0,1] neg_hi:[0,1]
	v_pk_add_f32 v[10:11], v[10:11], v[82:83] op_sel:[0,1] op_sel_hi:[1,0]
	v_mov_b32_e32 v82, v96
	v_mov_b32_e32 v83, v81
	ds_write2_b64 v128, v[16:17], v[82:83] offset1:117
	v_pk_add_f32 v[16:17], v[18:19], v[120:121]
	v_mov_b32_e32 v81, v97
	v_pk_add_f32 v[16:17], v[16:17], v[92:93]
	ds_write2_b64 v0, v[80:81], v[16:17] offset0:106 offset1:223
	v_mov_b32_e32 v16, v10
	v_mov_b32_e32 v17, v95
	;; [unrolled: 1-line block ×3, first 2 shown]
	v_pk_add_f32 v[10:11], v[86:87], v[116:117]
	ds_write2_b64 v3, v[16:17], v[94:95] offset0:84 offset1:201
	v_pk_add_f32 v[10:11], v[10:11], v[112:113]
	v_mov_b32_e32 v16, v90
	v_mov_b32_e32 v17, v119
	ds_write2_b64 v1, v[10:11], v[16:17] offset0:62 offset1:179
	v_pk_add_f32 v[10:11], v[88:89], v[108:109]
	v_mov_b32_e32 v16, v84
	v_pk_add_f32 v[10:11], v[10:11], v[110:111]
	v_mov_b32_e32 v17, v115
	v_add_u32_e32 v1, 0x2000, v12
	ds_write2_b64 v1, v[10:11], v[16:17] offset0:29 offset1:146
	v_mov_b32_e32 v10, v106
	v_mov_b32_e32 v11, v103
	v_add_u32_e32 v1, 0x2800, v7
	v_mov_b32_e32 v119, v91
	v_mov_b32_e32 v115, v85
	ds_write2_b64 v1, v[8:9], v[10:11] offset0:124 offset1:241
	v_mov_b32_e32 v103, v107
	v_lshlrev_b32_e32 v1, 5, v76
	ds_write_b64 v13, v[118:119] offset:7488
	ds_write_b64 v12, v[114:115] offset:10296
	;; [unrolled: 1-line block ×3, first 2 shown]
	s_waitcnt lgkmcnt(0)
	s_barrier
	global_load_dwordx4 v[88:91], v1, s[0:1] offset:2704
	global_load_dwordx4 v[84:87], v1, s[0:1] offset:2720
	v_lshlrev_b32_e32 v1, 5, v78
	global_load_dwordx4 v[80:83], v1, s[0:1] offset:2704
	global_load_dwordx4 v[76:79], v1, s[0:1] offset:2720
	v_lshlrev_b32_e32 v1, 5, v166
	global_load_dwordx4 v[96:99], v1, s[0:1] offset:2704
	global_load_dwordx4 v[92:95], v1, s[0:1] offset:2720
	ds_read2_b64 v[8:11], v3 offset0:84 offset1:201
	ds_read2_b64 v[16:19], v128 offset1:117
	ds_read2_b64 v[100:103], v5 offset0:62 offset1:179
	ds_read2_b64 v[106:109], v6 offset0:18 offset1:135
	;; [unrolled: 1-line block ×3, first 2 shown]
	s_mov_b32 s0, 0x3e9e377a
	s_waitcnt vmcnt(5) lgkmcnt(4)
	v_pk_mul_f32 v[114:115], v[8:9], v[88:89] op_sel:[0,1]
	s_nop 0
	v_pk_fma_f32 v[120:121], v[8:9], v[88:89], v[114:115] op_sel:[0,0,1] op_sel_hi:[1,1,0] neg_lo:[0,0,1] neg_hi:[0,0,1]
	v_pk_fma_f32 v[8:9], v[8:9], v[88:89], v[114:115] op_sel:[0,0,1] op_sel_hi:[1,0,0]
	s_waitcnt vmcnt(3)
	v_pk_mul_f32 v[126:127], v[10:11], v[80:81] op_sel:[0,1]
	v_mov_b32_e32 v8, v91
	v_mov_b32_e32 v121, v9
	s_waitcnt lgkmcnt(2)
	v_pk_mul_f32 v[8:9], v[102:103], v[8:9] op_sel_hi:[1,0]
	v_pk_fma_f32 v[132:133], v[10:11], v[80:81], v[126:127] op_sel:[0,0,1] op_sel_hi:[1,1,0] neg_lo:[0,0,1] neg_hi:[0,0,1]
	v_pk_fma_f32 v[122:123], v[102:103], v[90:91], v[8:9] op_sel:[0,0,1] op_sel_hi:[1,1,0] neg_lo:[0,0,1] neg_hi:[0,0,1]
	v_pk_fma_f32 v[8:9], v[102:103], v[90:91], v[8:9] op_sel:[0,0,1] op_sel_hi:[1,0,0]
	v_pk_fma_f32 v[10:11], v[10:11], v[80:81], v[126:127] op_sel:[0,0,1] op_sel_hi:[1,0,0]
	v_mov_b32_e32 v123, v9
	s_waitcnt lgkmcnt(1)
	v_pk_mul_f32 v[8:9], v[106:107], v[84:85] op_sel:[0,1]
	v_mov_b32_e32 v10, v83
	v_pk_fma_f32 v[102:103], v[106:107], v[84:85], v[8:9] op_sel:[0,0,1] op_sel_hi:[1,1,0] neg_lo:[0,0,1] neg_hi:[0,0,1]
	v_pk_fma_f32 v[8:9], v[106:107], v[84:85], v[8:9] op_sel:[0,0,1] op_sel_hi:[1,0,0]
	v_mov_b32_e32 v133, v11
	v_mov_b32_e32 v8, v87
	;; [unrolled: 1-line block ×3, first 2 shown]
	s_waitcnt lgkmcnt(0)
	v_pk_mul_f32 v[8:9], v[112:113], v[8:9] op_sel_hi:[1,0]
	s_nop 0
	v_pk_fma_f32 v[106:107], v[112:113], v[86:87], v[8:9] op_sel:[0,0,1] op_sel_hi:[1,1,0] neg_lo:[0,0,1] neg_hi:[0,0,1]
	v_pk_fma_f32 v[8:9], v[112:113], v[86:87], v[8:9] op_sel:[0,0,1] op_sel_hi:[1,0,0]
	ds_read2_b64 v[112:115], v0 offset0:106 offset1:223
	ds_read2_b64 v[116:119], v4 offset0:40 offset1:157
	ds_read_b64 v[124:125], v128 offset:13104
	v_mov_b32_e32 v107, v9
	v_pk_add_f32 v[8:9], v[18:19], v[120:121]
	s_waitcnt lgkmcnt(1)
	v_pk_mul_f32 v[126:127], v[116:117], v[10:11] op_sel_hi:[1,0]
	s_nop 0
	v_pk_fma_f32 v[134:135], v[116:117], v[82:83], v[126:127] op_sel:[0,0,1] op_sel_hi:[1,1,0] neg_lo:[0,0,1] neg_hi:[0,0,1]
	v_pk_fma_f32 v[116:117], v[116:117], v[82:83], v[126:127] op_sel:[0,0,1] op_sel_hi:[1,0,0]
	s_waitcnt vmcnt(2)
	v_mov_b32_e32 v10, v79
	v_mov_b32_e32 v135, v117
	v_pk_mul_f32 v[116:117], v[108:109], v[76:77] op_sel:[0,1]
	v_pk_add_f32 v[8:9], v[8:9], v[122:123]
	v_pk_fma_f32 v[126:127], v[108:109], v[76:77], v[116:117] op_sel:[0,0,1] op_sel_hi:[1,1,0] neg_lo:[0,0,1] neg_hi:[0,0,1]
	v_pk_fma_f32 v[108:109], v[108:109], v[76:77], v[116:117] op_sel:[0,0,1] op_sel_hi:[1,0,0]
	v_pk_add_f32 v[8:9], v[8:9], v[102:103]
	v_mov_b32_e32 v127, v109
	s_waitcnt lgkmcnt(0)
	v_pk_mul_f32 v[108:109], v[124:125], v[10:11] op_sel_hi:[1,0]
	v_mov_b32_e32 v10, v11
	v_pk_fma_f32 v[116:117], v[124:125], v[78:79], v[108:109] op_sel:[0,0,1] op_sel_hi:[1,1,0] neg_lo:[0,0,1] neg_hi:[0,0,1]
	v_pk_fma_f32 v[108:109], v[124:125], v[78:79], v[108:109] op_sel:[0,0,1] op_sel_hi:[1,0,0]
	v_mov_b32_e32 v11, v132
	v_mov_b32_e32 v117, v109
	v_pk_add_f32 v[136:137], v[132:133], v[116:117]
	v_mov_b32_e32 v108, v109
	v_mov_b32_e32 v109, v116
	v_pk_add_f32 v[10:11], v[10:11], v[108:109] neg_lo:[0,1] neg_hi:[0,1]
	v_pk_fma_f32 v[108:109], v[136:137], 0.5, v[112:113] op_sel_hi:[1,0,1] neg_lo:[1,0,0] neg_hi:[1,0,0]
	v_pk_add_f32 v[136:137], v[134:135], v[132:133] neg_lo:[0,1] neg_hi:[0,1]
	v_pk_add_f32 v[138:139], v[126:127], v[116:117] neg_lo:[0,1] neg_hi:[0,1]
	v_pk_add_f32 v[8:9], v[8:9], v[106:107]
	v_pk_add_f32 v[136:137], v[136:137], v[138:139]
	s_waitcnt vmcnt(1)
	v_pk_mul_f32 v[138:139], v[114:115], v[96:97] op_sel:[0,1]
	v_pk_add_f32 v[124:125], v[112:113], v[132:133]
	v_pk_fma_f32 v[140:141], v[114:115], v[96:97], v[138:139] op_sel:[0,0,1] op_sel_hi:[1,1,0] neg_lo:[0,0,1] neg_hi:[0,0,1]
	v_pk_fma_f32 v[114:115], v[114:115], v[96:97], v[138:139] op_sel:[0,0,1] op_sel_hi:[1,0,0]
	v_pk_add_f32 v[124:125], v[124:125], v[134:135]
	v_mov_b32_e32 v114, v99
	v_mov_b32_e32 v141, v115
	v_pk_mul_f32 v[114:115], v[100:101], v[114:115] op_sel_hi:[1,0]
	v_pk_add_f32 v[124:125], v[124:125], v[126:127]
	v_pk_fma_f32 v[138:139], v[100:101], v[98:99], v[114:115] op_sel:[0,0,1] op_sel_hi:[1,1,0] neg_lo:[0,0,1] neg_hi:[0,0,1]
	v_pk_fma_f32 v[100:101], v[100:101], v[98:99], v[114:115] op_sel:[0,0,1] op_sel_hi:[1,0,0]
	v_pk_add_f32 v[124:125], v[124:125], v[116:117]
	v_mov_b32_e32 v139, v101
	s_waitcnt vmcnt(0)
	v_pk_mul_f32 v[100:101], v[118:119], v[92:93] op_sel:[0,1]
	v_pk_add_f32 v[146:147], v[140:141], v[138:139] neg_lo:[0,1] neg_hi:[0,1]
	v_pk_fma_f32 v[114:115], v[118:119], v[92:93], v[100:101] op_sel:[0,0,1] op_sel_hi:[1,1,0] neg_lo:[0,0,1] neg_hi:[0,0,1]
	v_pk_fma_f32 v[100:101], v[118:119], v[92:93], v[100:101] op_sel:[0,0,1] op_sel_hi:[1,0,0]
	s_nop 0
	v_mov_b32_e32 v100, v95
	v_mov_b32_e32 v115, v101
	v_pk_mul_f32 v[100:101], v[110:111], v[100:101] op_sel_hi:[1,0]
	v_pk_add_f32 v[144:145], v[138:139], v[114:115] neg_lo:[0,1] neg_hi:[0,1]
	v_pk_fma_f32 v[118:119], v[110:111], v[94:95], v[100:101] op_sel:[0,0,1] op_sel_hi:[1,1,0] neg_lo:[0,0,1] neg_hi:[0,0,1]
	v_pk_fma_f32 v[100:101], v[110:111], v[94:95], v[100:101] op_sel:[0,0,1] op_sel_hi:[1,0,0]
	s_nop 0
	v_mov_b32_e32 v119, v101
	v_pk_add_f32 v[100:101], v[138:139], v[114:115]
	v_pk_add_f32 v[110:111], v[140:141], v[118:119] neg_lo:[0,1] neg_hi:[0,1]
	v_pk_fma_f32 v[100:101], v[100:101], 0.5, v[16:17] op_sel_hi:[1,0,1] neg_lo:[1,0,0] neg_hi:[1,0,0]
	v_pk_add_f32 v[148:149], v[118:119], v[114:115] neg_lo:[0,1] neg_hi:[0,1]
	v_pk_add_f32 v[154:155], v[114:115], v[118:119] neg_lo:[0,1] neg_hi:[0,1]
	v_pk_add_f32 v[146:147], v[146:147], v[148:149]
	v_pk_fma_f32 v[148:149], v[110:111], s[10:11], v[100:101] op_sel:[1,0,0] op_sel_hi:[0,0,1]
	v_pk_fma_f32 v[100:101], v[110:111], s[10:11], v[100:101] op_sel:[1,0,0] op_sel_hi:[0,0,1] neg_lo:[1,0,0] neg_hi:[1,0,0]
	v_pk_fma_f32 v[100:101], v[144:145], s[8:9], v[100:101] op_sel:[1,0,0] op_sel_hi:[0,0,1] neg_lo:[1,0,0] neg_hi:[1,0,0]
	v_pk_fma_f32 v[148:149], v[144:145], s[8:9], v[148:149] op_sel:[1,0,0] op_sel_hi:[0,0,1]
	v_mov_b32_e32 v150, v148
	v_mov_b32_e32 v151, v101
	;; [unrolled: 1-line block ×3, first 2 shown]
	v_pk_fma_f32 v[150:151], v[146:147], s[0:1], v[150:151] op_sel_hi:[1,0,1]
	v_pk_fma_f32 v[100:101], v[146:147], s[0:1], v[100:101] op_sel_hi:[1,0,1]
	v_pk_add_f32 v[146:147], v[140:141], v[118:119]
	v_pk_add_f32 v[148:149], v[138:139], v[140:141] neg_lo:[0,1] neg_hi:[0,1]
	v_pk_fma_f32 v[146:147], v[146:147], 0.5, v[16:17] op_sel_hi:[1,0,1] neg_lo:[1,0,0] neg_hi:[1,0,0]
	v_pk_add_f32 v[16:17], v[16:17], v[140:141]
	v_pk_add_f32 v[148:149], v[148:149], v[154:155]
	;; [unrolled: 1-line block ×3, first 2 shown]
	v_pk_fma_f32 v[154:155], v[144:145], s[10:11], v[146:147] op_sel:[1,0,0] op_sel_hi:[0,0,1] neg_lo:[1,0,0] neg_hi:[1,0,0]
	v_pk_fma_f32 v[144:145], v[144:145], s[10:11], v[146:147] op_sel:[1,0,0] op_sel_hi:[0,0,1]
	v_pk_add_f32 v[16:17], v[16:17], v[114:115]
	v_pk_fma_f32 v[144:145], v[110:111], s[8:9], v[144:145] op_sel:[1,0,0] op_sel_hi:[0,0,1] neg_lo:[1,0,0] neg_hi:[1,0,0]
	v_pk_fma_f32 v[110:111], v[110:111], s[8:9], v[154:155] op_sel:[1,0,0] op_sel_hi:[0,0,1]
	v_pk_add_f32 v[16:17], v[16:17], v[118:119]
	v_mov_b32_e32 v147, v145
	v_mov_b32_e32 v145, v111
	ds_write2_b64 v128, v[16:17], v[8:9] offset1:117
	v_pk_add_f32 v[8:9], v[122:123], v[102:103]
	v_pk_add_f32 v[16:17], v[120:121], v[106:107] neg_lo:[0,1] neg_hi:[0,1]
	v_mov_b32_e32 v146, v110
	v_pk_fma_f32 v[110:111], v[148:149], s[0:1], v[144:145] op_sel_hi:[1,0,1]
	v_pk_fma_f32 v[8:9], v[8:9], 0.5, v[18:19] op_sel_hi:[1,0,1] neg_lo:[1,0,0] neg_hi:[1,0,0]
	v_pk_mul_f32 v[114:115], v[16:17], s[10:11] op_sel_hi:[1,0]
	v_pk_add_f32 v[118:119], v[122:123], v[102:103] neg_lo:[0,1] neg_hi:[0,1]
	v_pk_add_f32 v[140:141], v[120:121], v[122:123] neg_lo:[0,1] neg_hi:[0,1]
	;; [unrolled: 1-line block ×3, first 2 shown]
	v_pk_mul_f32 v[138:139], v[118:119], s[8:9] op_sel_hi:[1,0]
	v_pk_add_f32 v[140:141], v[140:141], v[144:145]
	v_pk_add_f32 v[144:145], v[8:9], v[114:115] op_sel:[0,1] op_sel_hi:[1,0]
	v_pk_add_f32 v[8:9], v[8:9], v[114:115] op_sel:[0,1] op_sel_hi:[1,0] neg_lo:[0,1] neg_hi:[0,1]
	v_pk_add_f32 v[114:115], v[144:145], v[138:139] op_sel:[0,1] op_sel_hi:[1,0]
	v_pk_add_f32 v[144:145], v[120:121], v[106:107]
	v_pk_add_f32 v[102:103], v[102:103], v[106:107] neg_lo:[0,1] neg_hi:[0,1]
	v_pk_fma_f32 v[18:19], v[144:145], 0.5, v[18:19] op_sel_hi:[1,0,1] neg_lo:[1,0,0] neg_hi:[1,0,0]
	v_pk_mul_f32 v[106:107], v[118:119], s[10:11] op_sel_hi:[1,0]
	v_pk_mul_f32 v[16:17], v[16:17], s[8:9] op_sel_hi:[1,0]
	v_pk_add_f32 v[118:119], v[18:19], v[106:107] op_sel:[0,1] op_sel_hi:[1,0] neg_lo:[0,1] neg_hi:[0,1]
	v_pk_add_f32 v[18:19], v[18:19], v[106:107] op_sel:[0,1] op_sel_hi:[1,0]
	v_pk_add_f32 v[8:9], v[8:9], v[138:139] op_sel:[0,1] op_sel_hi:[1,0] neg_lo:[0,1] neg_hi:[0,1]
	v_pk_add_f32 v[120:121], v[122:123], v[120:121] neg_lo:[0,1] neg_hi:[0,1]
	v_pk_add_f32 v[18:19], v[18:19], v[16:17] op_sel:[0,1] op_sel_hi:[1,0] neg_lo:[0,1] neg_hi:[0,1]
	v_pk_add_f32 v[16:17], v[118:119], v[16:17] op_sel:[0,1] op_sel_hi:[1,0]
	v_mov_b32_e32 v139, v9
	v_pk_add_f32 v[102:103], v[120:121], v[102:103]
	v_mov_b32_e32 v106, v16
	v_mov_b32_e32 v107, v19
	;; [unrolled: 1-line block ×3, first 2 shown]
	v_pk_fma_f32 v[146:147], v[148:149], s[0:1], v[146:147] op_sel_hi:[1,0,1]
	v_pk_fma_f32 v[106:107], v[102:103], s[0:1], v[106:107] op_sel_hi:[1,0,1]
	;; [unrolled: 1-line block ×3, first 2 shown]
	ds_write2_b64 v5, v[146:147], v[106:107] offset0:62 offset1:179
	v_mov_b32_e32 v19, v17
	ds_write2_b64 v2, v[100:101], v[8:9] offset0:124 offset1:241
	ds_write2_b64 v0, v[124:125], v[150:151] offset0:106 offset1:223
	v_pk_add_f32 v[0:1], v[134:135], v[126:127]
	v_pk_fma_f32 v[16:17], v[102:103], s[0:1], v[18:19] op_sel_hi:[1,0,1]
	v_pk_fma_f32 v[0:1], v[0:1], 0.5, v[112:113] op_sel_hi:[1,0,1] neg_lo:[1,0,0] neg_hi:[1,0,0]
	v_pk_add_f32 v[8:9], v[134:135], v[126:127] neg_lo:[0,1] neg_hi:[0,1]
	v_pk_add_f32 v[100:101], v[132:133], v[134:135] neg_lo:[0,1] neg_hi:[0,1]
	;; [unrolled: 1-line block ×3, first 2 shown]
	v_pk_mul_f32 v[18:19], v[8:9], s[8:9] op_sel_hi:[1,0]
	v_pk_add_f32 v[100:101], v[100:101], v[102:103]
	v_pk_fma_f32 v[102:103], v[10:11], s[10:11], v[0:1] op_sel_hi:[1,0,1] neg_lo:[1,0,0] neg_hi:[1,0,0]
	v_pk_fma_f32 v[0:1], v[10:11], s[10:11], v[0:1] op_sel_hi:[1,0,1]
	v_pk_add_f32 v[102:103], v[102:103], v[18:19] op_sel:[0,1] op_sel_hi:[1,0] neg_lo:[0,1] neg_hi:[0,1]
	v_pk_mul_f32 v[8:9], v[8:9], s[10:11] op_sel_hi:[1,0]
	v_pk_add_f32 v[0:1], v[18:19], v[0:1] op_sel:[1,0] op_sel_hi:[0,1]
	v_mov_b32_e32 v18, v0
	v_mov_b32_e32 v19, v103
	;; [unrolled: 1-line block ×3, first 2 shown]
	v_pk_add_f32 v[0:1], v[108:109], v[8:9] op_sel:[0,1] op_sel_hi:[1,0]
	v_pk_add_f32 v[8:9], v[108:109], v[8:9] op_sel:[0,1] op_sel_hi:[1,0] neg_lo:[0,1] neg_hi:[0,1]
	v_pk_fma_f32 v[0:1], v[10:11], s[8:9], v[0:1] op_sel_hi:[1,0,1] neg_lo:[1,0,0] neg_hi:[1,0,0]
	v_pk_fma_f32 v[8:9], v[10:11], s[8:9], v[8:9] op_sel_hi:[1,0,1]
	v_mov_b32_e32 v138, v114
	v_mov_b32_e32 v11, v9
	;; [unrolled: 1-line block ×3, first 2 shown]
	v_pk_fma_f32 v[138:139], v[140:141], s[0:1], v[138:139] op_sel_hi:[1,0,1]
	v_pk_fma_f32 v[18:19], v[100:101], s[0:1], v[18:19] op_sel_hi:[1,0,1]
	v_mov_b32_e32 v10, v0
	v_pk_fma_f32 v[0:1], v[136:137], s[0:1], v[8:9] op_sel_hi:[1,0,1]
	s_movk_i32 s10, 0x3000
	v_pk_fma_f32 v[102:103], v[100:101], s[0:1], v[102:103] op_sel_hi:[1,0,1]
	v_pk_fma_f32 v[100:101], v[136:137], s[0:1], v[10:11] op_sel_hi:[1,0,1]
	ds_write2_b64 v3, v[138:139], v[18:19] offset0:84 offset1:201
	ds_write2_b64 v4, v[0:1], v[110:111] offset0:40 offset1:157
	;; [unrolled: 1-line block ×3, first 2 shown]
	ds_write_b64 v128, v[102:103] offset:13104
	v_add_co_u32_e64 v0, s[0:1], s10, v104
	s_waitcnt lgkmcnt(0)
	s_nop 0
	v_addc_co_u32_e64 v1, s[0:1], 0, v105, s[0:1]
	s_barrier
	global_load_dwordx2 v[16:17], v[0:1], off offset:1752
	s_mov_b64 s[0:1], 0x36d8
	v_lshl_add_u64 v[0:1], v[104:105], 0, s[0:1]
	global_load_dwordx2 v[18:19], v[0:1], off offset:1080
	global_load_dwordx2 v[106:107], v[0:1], off offset:2160
	global_load_dwordx2 v[108:109], v[0:1], off offset:3240
	s_movk_i32 s0, 0x4000
	v_add_co_u32_e64 v8, s[0:1], s0, v104
	s_movk_i32 s11, 0x2000
	s_nop 0
	v_addc_co_u32_e64 v9, s[0:1], 0, v105, s[0:1]
	global_load_dwordx2 v[110:111], v[8:9], off offset:1976
	global_load_dwordx2 v[112:113], v[8:9], off offset:3056
	s_movk_i32 s0, 0x5000
	v_add_co_u32_e64 v8, s[0:1], s0, v104
	s_nop 1
	v_addc_co_u32_e64 v9, s[0:1], 0, v105, s[0:1]
	global_load_dwordx2 v[114:115], v[8:9], off offset:40
	global_load_dwordx2 v[116:117], v[8:9], off offset:1120
	;; [unrolled: 1-line block ×4, first 2 shown]
	s_movk_i32 s0, 0x6000
	v_add_co_u32_e64 v8, s[0:1], s0, v104
	s_nop 1
	v_addc_co_u32_e64 v9, s[0:1], 0, v105, s[0:1]
	global_load_dwordx2 v[122:123], v[8:9], off offset:264
	global_load_dwordx2 v[124:125], v[8:9], off offset:1344
	;; [unrolled: 1-line block ×3, first 2 shown]
	ds_read2_b64 v[8:11], v128 offset1:135
	s_movk_i32 s0, 0x1000
	s_waitcnt vmcnt(12) lgkmcnt(0)
	v_mul_f32_e32 v7, v9, v17
	v_mul_f32_e32 v105, v8, v17
	v_fma_f32 v104, v8, v16, -v7
	v_fmac_f32_e32 v105, v9, v16
	s_waitcnt vmcnt(11)
	v_mul_f32_e32 v7, v11, v19
	v_mul_f32_e32 v9, v10, v19
	v_fma_f32 v8, v10, v18, -v7
	v_fmac_f32_e32 v9, v11, v18
	ds_write2_b64 v128, v[104:105], v[8:9] offset1:135
	v_add_u32_e32 v7, 0x800, v128
	ds_read2_b64 v[8:11], v7 offset0:14 offset1:149
	s_waitcnt vmcnt(10) lgkmcnt(0)
	v_mul_f32_e32 v12, v9, v107
	v_fma_f32 v104, v8, v106, -v12
	v_mul_f32_e32 v105, v8, v107
	s_waitcnt vmcnt(9)
	v_mul_f32_e32 v8, v11, v109
	v_fmac_f32_e32 v105, v9, v106
	v_fma_f32 v106, v10, v108, -v8
	v_add_u32_e32 v8, 0x1000, v128
	ds_read2_b64 v[16:19], v8 offset0:28 offset1:163
	v_mul_f32_e32 v107, v10, v109
	v_fmac_f32_e32 v107, v11, v108
	ds_write2_b64 v7, v[104:105], v[106:107] offset0:14 offset1:149
	s_waitcnt vmcnt(8) lgkmcnt(1)
	v_mul_f32_e32 v9, v17, v111
	v_fma_f32 v10, v16, v110, -v9
	v_add_u32_e32 v9, 0x1800, v128
	ds_read2_b64 v[104:107], v9 offset0:42 offset1:177
	v_mul_f32_e32 v11, v16, v111
	v_fmac_f32_e32 v11, v17, v110
	s_waitcnt vmcnt(7)
	v_mul_f32_e32 v12, v19, v113
	v_mul_f32_e32 v17, v18, v113
	v_fma_f32 v16, v18, v112, -v12
	v_fmac_f32_e32 v17, v19, v112
	ds_write2_b64 v8, v[10:11], v[16:17] offset0:28 offset1:163
	s_waitcnt vmcnt(6) lgkmcnt(1)
	v_mul_f32_e32 v10, v105, v115
	v_fma_f32 v108, v104, v114, -v10
	v_add_u32_e32 v10, 0x2000, v128
	ds_read2_b64 v[16:19], v10 offset0:56 offset1:191
	v_mul_f32_e32 v109, v104, v115
	v_fmac_f32_e32 v109, v105, v114
	s_waitcnt vmcnt(5)
	v_mul_f32_e32 v11, v107, v117
	v_mul_f32_e32 v105, v106, v117
	v_fma_f32 v104, v106, v116, -v11
	v_fmac_f32_e32 v105, v107, v116
	ds_write2_b64 v9, v[108:109], v[104:105] offset0:42 offset1:177
	ds_read2_b64 v[104:107], v2 offset0:70 offset1:205
	s_waitcnt vmcnt(4) lgkmcnt(2)
	v_mul_f32_e32 v11, v17, v119
	v_mul_f32_e32 v109, v16, v119
	v_fma_f32 v108, v16, v118, -v11
	v_fmac_f32_e32 v109, v17, v118
	s_waitcnt vmcnt(3)
	v_mul_f32_e32 v11, v19, v121
	v_mul_f32_e32 v17, v18, v121
	v_fma_f32 v16, v18, v120, -v11
	v_fmac_f32_e32 v17, v19, v120
	ds_read_b64 v[18:19], v128 offset:12960
	ds_write2_b64 v10, v[108:109], v[16:17] offset0:56 offset1:191
	s_waitcnt vmcnt(2) lgkmcnt(2)
	v_mul_f32_e32 v11, v105, v123
	v_mul_f32_e32 v17, v104, v123
	v_fma_f32 v16, v104, v122, -v11
	v_fmac_f32_e32 v17, v105, v122
	s_waitcnt vmcnt(1)
	v_mul_f32_e32 v11, v107, v125
	v_mul_f32_e32 v105, v106, v125
	v_fma_f32 v104, v106, v124, -v11
	v_fmac_f32_e32 v105, v107, v124
	ds_write2_b64 v2, v[16:17], v[104:105] offset0:70 offset1:205
	s_waitcnt vmcnt(0) lgkmcnt(2)
	v_mul_f32_e32 v11, v19, v127
	v_mul_f32_e32 v17, v18, v127
	v_fma_f32 v16, v18, v126, -v11
	v_fmac_f32_e32 v17, v19, v126
	ds_write_b64 v128, v[16:17] offset:12960
	s_and_saveexec_b64 s[8:9], vcc
	s_cbranch_execz .LBB0_9
; %bb.8:
	global_load_dwordx2 v[104:105], v[0:1], off offset:936
	global_load_dwordx2 v[106:107], v[0:1], off offset:2016
	;; [unrolled: 1-line block ×3, first 2 shown]
	v_add_co_u32_e64 v16, s[0:1], s0, v0
	v_add_u32_e32 v11, 0x2c00, v128
	s_nop 0
	v_addc_co_u32_e64 v17, s[0:1], 0, v1, s[0:1]
	global_load_dwordx2 v[122:123], v[16:17], off offset:80
	global_load_dwordx2 v[124:125], v[16:17], off offset:1160
	;; [unrolled: 1-line block ×4, first 2 shown]
	v_add_co_u32_e64 v16, s[0:1], s11, v0
	s_nop 1
	v_addc_co_u32_e64 v17, s[0:1], 0, v1, s[0:1]
	v_add_co_u32_e64 v0, s[0:1], s10, v0
	global_load_dwordx2 v[134:135], v[16:17], off offset:304
	global_load_dwordx2 v[136:137], v[16:17], off offset:1384
	;; [unrolled: 1-line block ×4, first 2 shown]
	v_addc_co_u32_e64 v1, s[0:1], 0, v1, s[0:1]
	global_load_dwordx2 v[144:145], v[0:1], off offset:528
	s_nop 0
	global_load_dwordx2 v[0:1], v[0:1], off offset:1608
	ds_read2_b64 v[16:19], v128 offset0:117 offset1:252
	s_waitcnt vmcnt(12) lgkmcnt(0)
	v_mul_f32_e32 v12, v17, v105
	v_mul_f32_e32 v109, v16, v105
	s_waitcnt vmcnt(11)
	v_mul_f32_e32 v13, v19, v107
	v_mul_f32_e32 v105, v18, v107
	v_fma_f32 v108, v16, v104, -v12
	v_fmac_f32_e32 v109, v17, v104
	v_fma_f32 v104, v18, v106, -v13
	v_fmac_f32_e32 v105, v19, v106
	ds_write2_b64 v128, v[108:109], v[104:105] offset0:117 offset1:252
	ds_read2_b64 v[16:19], v3 offset0:3 offset1:138
	ds_read2_b64 v[104:107], v5 offset0:17 offset1:152
	;; [unrolled: 1-line block ×5, first 2 shown]
	ds_read_b64 v[146:147], v128 offset:13896
	s_waitcnt vmcnt(10) lgkmcnt(5)
	v_mul_f32_e32 v12, v17, v121
	v_mul_f32_e32 v149, v16, v121
	s_waitcnt vmcnt(9)
	v_mul_f32_e32 v13, v19, v123
	v_mul_f32_e32 v121, v18, v123
	s_waitcnt vmcnt(8) lgkmcnt(4)
	v_mul_f32_e32 v14, v105, v125
	v_mul_f32_e32 v123, v104, v125
	s_waitcnt vmcnt(7)
	v_mul_f32_e32 v15, v107, v127
	v_mul_f32_e32 v125, v106, v127
	;; [unrolled: 6-line block ×5, first 2 shown]
	s_waitcnt vmcnt(0) lgkmcnt(0)
	v_mul_f32_e32 v152, v147, v1
	v_mul_f32_e32 v145, v146, v1
	v_fma_f32 v148, v16, v120, -v12
	v_fmac_f32_e32 v149, v17, v120
	v_fma_f32 v120, v18, v122, -v13
	v_fmac_f32_e32 v121, v19, v122
	;; [unrolled: 2-line block ×11, first 2 shown]
	ds_write2_b64 v3, v[148:149], v[120:121] offset0:3 offset1:138
	ds_write2_b64 v5, v[122:123], v[124:125] offset0:17 offset1:152
	;; [unrolled: 1-line block ×5, first 2 shown]
	ds_write_b64 v128, v[144:145] offset:13896
.LBB0_9:
	s_or_b64 exec, exec, s[8:9]
	s_waitcnt lgkmcnt(0)
	s_barrier
	ds_read2_b64 v[104:107], v128 offset1:135
	ds_read2_b64 v[120:123], v7 offset0:14 offset1:149
	ds_read2_b64 v[112:115], v8 offset0:28 offset1:163
	;; [unrolled: 1-line block ×5, first 2 shown]
	ds_read_b64 v[0:1], v128 offset:12960
	s_and_saveexec_b64 s[0:1], vcc
	s_cbranch_execz .LBB0_11
; %bb.10:
	v_add_u32_e32 v2, 0xc00, v128
	ds_read2_b64 v[168:171], v2 offset0:3 offset1:138
	v_add_u32_e32 v2, 0x1400, v128
	ds_read2_b64 a[36:39], v2 offset0:17 offset1:152
	;; [unrolled: 2-line block ×5, first 2 shown]
	ds_read2_b64 a[32:35], v2 offset0:59 offset1:194
	ds_read_b64 a[0:1], v128 offset:13896
.LBB0_11:
	s_or_b64 exec, exec, s[0:1]
	v_mov_b32_e32 v3, v36
	v_mov_b32_e32 v2, v36
	v_accvgpr_write_b32 a67, v3
	v_accvgpr_write_b32 a66, v2
	v_mov_b32_e32 v3, v32
	v_mov_b32_e32 v2, v32
	v_accvgpr_write_b32 a63, v3
	v_accvgpr_write_b32 a62, v2
	;; [unrolled: 4-line block ×3, first 2 shown]
	s_waitcnt lgkmcnt(6)
	v_pk_add_f32 v[2:3], v[104:105], v[106:107]
	s_waitcnt lgkmcnt(0)
	v_pk_add_f32 v[180:181], v[0:1], v[106:107]
	v_pk_add_f32 v[2:3], v[2:3], v[120:121]
	v_pk_add_f32 v[106:107], v[106:107], v[0:1] neg_lo:[0,1] neg_hi:[0,1]
	v_pk_add_f32 v[2:3], v[2:3], v[122:123]
	s_mov_b32 s40, 0xbeedf032
	v_pk_add_f32 v[2:3], v[2:3], v[112:113]
	s_mov_b32 s0, 0x3f62ad3f
	v_pk_add_f32 v[2:3], v[2:3], v[114:115]
	v_pk_add_f32 v[184:185], v[120:121], v[126:127] neg_lo:[0,1] neg_hi:[0,1]
	v_pk_add_f32 v[2:3], v[2:3], v[108:109]
	s_mov_b32 s20, 0xbf52af12
	v_pk_add_f32 v[2:3], v[2:3], v[110:111]
	v_pk_add_f32 v[182:183], v[126:127], v[120:121]
	;; [unrolled: 1-line block ×3, first 2 shown]
	s_mov_b32 s8, 0x3f116cb1
	v_pk_add_f32 v[2:3], v[2:3], v[118:119]
	v_pk_add_f32 v[186:187], v[124:125], v[122:123]
	;; [unrolled: 1-line block ×3, first 2 shown]
	v_pk_add_f32 v[122:123], v[122:123], v[124:125] neg_lo:[0,1] neg_hi:[0,1]
	v_pk_add_f32 v[2:3], v[2:3], v[126:127]
	s_mov_b32 s28, 0xbf7e222b
	v_pk_add_f32 v[2:3], v[2:3], v[0:1]
	v_pk_mul_f32 v[0:1], v[106:107], s[40:41] op_sel_hi:[1,0]
	s_mov_b32 s10, 0x3df6dbef
	v_pk_fma_f32 v[4:5], v[180:181], s[0:1], v[0:1] op_sel:[0,0,1] op_sel_hi:[1,0,0]
	v_pk_fma_f32 v[224:225], v[180:181], s[0:1], v[0:1] op_sel:[0,0,1] op_sel_hi:[1,0,0] neg_lo:[0,0,1] neg_hi:[0,0,1]
	v_mov_b32_e32 v0, v4
	v_accvgpr_write_b32 a57, v5
	v_pk_mul_f32 v[4:5], v[184:185], s[20:21] op_sel_hi:[1,0]
	v_mov_b32_e32 v1, v225
	v_pk_fma_f32 v[6:7], v[182:183], s[8:9], v[4:5] op_sel:[0,0,1] op_sel_hi:[1,0,0]
	v_pk_fma_f32 v[228:229], v[182:183], s[8:9], v[4:5] op_sel:[0,0,1] op_sel_hi:[1,0,0] neg_lo:[0,0,1] neg_hi:[0,0,1]
	v_pk_add_f32 v[0:1], v[104:105], v[0:1]
	v_mov_b32_e32 v4, v6
	v_mov_b32_e32 v5, v229
	v_pk_add_f32 v[0:1], v[4:5], v[0:1]
	v_pk_mul_f32 v[4:5], v[122:123], s[28:29] op_sel_hi:[1,0]
	v_accvgpr_write_b32 a69, v7
	v_pk_fma_f32 v[6:7], v[186:187], s[10:11], v[4:5] op_sel:[0,0,1] op_sel_hi:[1,0,0]
	v_pk_fma_f32 v[232:233], v[186:187], s[10:11], v[4:5] op_sel:[0,0,1] op_sel_hi:[1,0,0] neg_lo:[0,0,1] neg_hi:[0,0,1]
	v_mov_b32_e32 v4, v6
	v_mov_b32_e32 v5, v233
	v_pk_add_f32 v[188:189], v[112:113], v[118:119] neg_lo:[0,1] neg_hi:[0,1]
	s_mov_b32 s14, 0xbf6f5d39
	v_pk_add_f32 v[0:1], v[4:5], v[0:1]
	v_pk_add_f32 v[124:125], v[118:119], v[112:113]
	s_mov_b32 s12, 0xbeb58ec6
	v_pk_mul_f32 v[4:5], v[188:189], s[14:15] op_sel_hi:[1,0]
	v_accvgpr_write_b32 a71, v7
	v_pk_fma_f32 v[6:7], v[124:125], s[12:13], v[4:5] op_sel:[0,0,1] op_sel_hi:[1,0,0]
	v_pk_fma_f32 v[236:237], v[124:125], s[12:13], v[4:5] op_sel:[0,0,1] op_sel_hi:[1,0,0] neg_lo:[0,0,1] neg_hi:[0,0,1]
	v_mov_b32_e32 v4, v6
	v_mov_b32_e32 v5, v237
	v_pk_add_f32 v[192:193], v[114:115], v[116:117] neg_lo:[0,1] neg_hi:[0,1]
	s_mov_b32 s18, 0xbf29c268
	v_pk_add_f32 v[0:1], v[4:5], v[0:1]
	v_pk_add_f32 v[190:191], v[116:117], v[114:115]
	s_mov_b32 s16, 0xbf3f9e67
	v_pk_mul_f32 v[4:5], v[192:193], s[18:19] op_sel_hi:[1,0]
	v_accvgpr_write_b32 a73, v7
	v_pk_fma_f32 v[6:7], v[190:191], s[16:17], v[4:5] op_sel:[0,0,1] op_sel_hi:[1,0,0]
	v_pk_fma_f32 v[240:241], v[190:191], s[16:17], v[4:5] op_sel:[0,0,1] op_sel_hi:[1,0,0] neg_lo:[0,0,1] neg_hi:[0,0,1]
	v_mov_b32_e32 v4, v6
	v_mov_b32_e32 v5, v241
	v_pk_add_f32 v[194:195], v[110:111], v[108:109]
	v_pk_add_f32 v[108:109], v[108:109], v[110:111] neg_lo:[0,1] neg_hi:[0,1]
	s_mov_b32 s24, 0xbe750f2a
	v_pk_add_f32 v[0:1], v[4:5], v[0:1]
	s_mov_b32 s22, 0xbf788fa5
	v_pk_mul_f32 v[4:5], v[108:109], s[24:25] op_sel_hi:[1,0]
	v_accvgpr_write_b32 a75, v7
	v_pk_fma_f32 v[6:7], v[194:195], s[22:23], v[4:5] op_sel:[0,0,1] op_sel_hi:[1,0,0]
	v_pk_fma_f32 v[244:245], v[194:195], s[22:23], v[4:5] op_sel:[0,0,1] op_sel_hi:[1,0,0] neg_lo:[0,0,1] neg_hi:[0,0,1]
	v_mov_b32_e32 v4, v6
	v_mov_b32_e32 v5, v245
	v_pk_add_f32 v[0:1], v[4:5], v[0:1]
	s_barrier
	ds_write2_b64 v129, v[2:3], v[0:1] offset1:1
	v_pk_mul_f32 v[0:1], v[106:107], s[20:21] op_sel_hi:[1,0]
	s_mov_b32 s34, 0x3f29c268
	v_pk_fma_f32 v[2:3], v[180:181], s[8:9], v[0:1] op_sel:[0,0,1] op_sel_hi:[1,0,0]
	v_pk_fma_f32 v[248:249], v[180:181], s[8:9], v[0:1] op_sel:[0,0,1] op_sel_hi:[1,0,0] neg_lo:[0,0,1] neg_hi:[0,0,1]
	v_mov_b32_e32 v0, v2
	v_mov_b32_e32 v225, v3
	v_pk_mul_f32 v[2:3], v[184:185], s[14:15] op_sel_hi:[1,0]
	v_mov_b32_e32 v1, v249
	v_pk_fma_f32 v[4:5], v[182:183], s[12:13], v[2:3] op_sel:[0,0,1] op_sel_hi:[1,0,0]
	v_pk_fma_f32 v[252:253], v[182:183], s[12:13], v[2:3] op_sel:[0,0,1] op_sel_hi:[1,0,0] neg_lo:[0,0,1] neg_hi:[0,0,1]
	v_pk_add_f32 v[0:1], v[104:105], v[0:1]
	v_mov_b32_e32 v2, v4
	v_mov_b32_e32 v3, v253
	v_pk_add_f32 v[0:1], v[2:3], v[0:1]
	v_pk_mul_f32 v[2:3], v[122:123], s[24:25] op_sel_hi:[1,0]
	s_mov_b32 s26, 0x3f7e222b
	v_pk_fma_f32 v[226:227], v[186:187], s[22:23], v[2:3] op_sel:[0,0,1] op_sel_hi:[1,0,0]
	v_pk_fma_f32 v[254:255], v[186:187], s[22:23], v[2:3] op_sel:[0,0,1] op_sel_hi:[1,0,0] neg_lo:[0,0,1] neg_hi:[0,0,1]
	v_mov_b32_e32 v2, v226
	v_mov_b32_e32 v3, v255
	v_pk_add_f32 v[0:1], v[2:3], v[0:1]
	v_pk_mul_f32 v[2:3], v[188:189], s[34:35] op_sel_hi:[1,0]
	s_mov_b32 s30, 0x3eedf032
	v_pk_fma_f32 v[222:223], v[124:125], s[16:17], v[2:3] op_sel:[0,0,1] op_sel_hi:[1,0,0]
	v_pk_fma_f32 v[132:133], v[124:125], s[16:17], v[2:3] op_sel:[0,0,1] op_sel_hi:[1,0,0] neg_lo:[0,0,1] neg_hi:[0,0,1]
	v_mov_b32_e32 v2, v222
	v_mov_b32_e32 v3, v133
	v_pk_add_f32 v[0:1], v[2:3], v[0:1]
	v_pk_mul_f32 v[2:3], v[192:193], s[26:27] op_sel_hi:[1,0]
	v_accvgpr_write_b32 a77, v7
	v_pk_fma_f32 v[162:163], v[190:191], s[10:11], v[2:3] op_sel:[0,0,1] op_sel_hi:[1,0,0]
	v_pk_fma_f32 v[136:137], v[190:191], s[10:11], v[2:3] op_sel:[0,0,1] op_sel_hi:[1,0,0] neg_lo:[0,0,1] neg_hi:[0,0,1]
	v_mov_b32_e32 v2, v162
	v_mov_b32_e32 v3, v137
	v_pk_add_f32 v[0:1], v[2:3], v[0:1]
	v_pk_mul_f32 v[2:3], v[108:109], s[30:31] op_sel_hi:[1,0]
	s_mov_b32 s42, 0x3f6f5d39
	v_pk_fma_f32 v[144:145], v[194:195], s[0:1], v[2:3] op_sel:[0,0,1] op_sel_hi:[1,0,0]
	v_pk_fma_f32 v[140:141], v[194:195], s[0:1], v[2:3] op_sel:[0,0,1] op_sel_hi:[1,0,0] neg_lo:[0,0,1] neg_hi:[0,0,1]
	v_mov_b32_e32 v2, v144
	v_mov_b32_e32 v3, v141
	v_pk_add_f32 v[6:7], v[2:3], v[0:1]
	v_pk_mul_f32 v[0:1], v[106:107], s[28:29] op_sel_hi:[1,0]
	v_pk_mul_f32 v[2:3], v[184:185], s[24:25] op_sel_hi:[1,0]
	v_pk_fma_f32 v[148:149], v[180:181], s[10:11], v[0:1] op_sel:[0,0,1] op_sel_hi:[1,0,0]
	v_pk_fma_f32 v[146:147], v[180:181], s[10:11], v[0:1] op_sel:[0,0,1] op_sel_hi:[1,0,0] neg_lo:[0,0,1] neg_hi:[0,0,1]
	v_mov_b32_e32 v0, v148
	v_mov_b32_e32 v1, v147
	v_pk_fma_f32 v[154:155], v[182:183], s[22:23], v[2:3] op_sel:[0,0,1] op_sel_hi:[1,0,0]
	v_pk_fma_f32 v[150:151], v[182:183], s[22:23], v[2:3] op_sel:[0,0,1] op_sel_hi:[1,0,0] neg_lo:[0,0,1] neg_hi:[0,0,1]
	v_pk_add_f32 v[0:1], v[104:105], v[0:1]
	v_mov_b32_e32 v2, v154
	v_mov_b32_e32 v3, v151
	v_pk_add_f32 v[0:1], v[2:3], v[0:1]
	v_pk_mul_f32 v[2:3], v[122:123], s[42:43] op_sel_hi:[1,0]
	v_mov_b32_e32 v229, v5
	v_pk_fma_f32 v[158:159], v[186:187], s[12:13], v[2:3] op_sel:[0,0,1] op_sel_hi:[1,0,0]
	v_pk_fma_f32 v[156:157], v[186:187], s[12:13], v[2:3] op_sel:[0,0,1] op_sel_hi:[1,0,0] neg_lo:[0,0,1] neg_hi:[0,0,1]
	v_mov_b32_e32 v2, v158
	v_mov_b32_e32 v3, v157
	v_pk_add_f32 v[0:1], v[2:3], v[0:1]
	v_pk_mul_f32 v[2:3], v[188:189], s[30:31] op_sel_hi:[1,0]
	v_pk_mul_f32 v[4:5], v[192:193], s[20:21] op_sel_hi:[1,0]
	v_pk_fma_f32 v[138:139], v[124:125], s[0:1], v[2:3] op_sel:[0,0,1] op_sel_hi:[1,0,0]
	v_pk_fma_f32 v[160:161], v[124:125], s[0:1], v[2:3] op_sel:[0,0,1] op_sel_hi:[1,0,0] neg_lo:[0,0,1] neg_hi:[0,0,1]
	v_mov_b32_e32 v2, v138
	v_mov_b32_e32 v3, v161
	v_pk_fma_f32 v[134:135], v[190:191], s[8:9], v[4:5] op_sel:[0,0,1] op_sel_hi:[1,0,0]
	v_pk_fma_f32 v[18:19], v[190:191], s[8:9], v[4:5] op_sel:[0,0,1] op_sel_hi:[1,0,0] neg_lo:[0,0,1] neg_hi:[0,0,1]
	v_pk_add_f32 v[2:3], v[2:3], v[0:1]
	v_mov_b32_e32 v4, v134
	v_mov_b32_e32 v5, v19
	v_pk_add_f32 v[8:9], v[4:5], v[2:3]
	v_pk_mul_f32 v[2:3], v[108:109], s[18:19] op_sel_hi:[1,0]
	s_mov_b32 s38, 0x3e750f2a
	v_pk_fma_f32 v[16:17], v[194:195], s[16:17], v[2:3] op_sel:[0,0,1] op_sel_hi:[1,0,0]
	v_pk_fma_f32 v[2:3], v[194:195], s[16:17], v[2:3] op_sel:[0,0,1] op_sel_hi:[1,0,0] neg_lo:[0,0,1] neg_hi:[0,0,1]
	v_mov_b32_e32 v10, v16
	v_mov_b32_e32 v11, v3
	v_pk_add_f32 v[8:9], v[10:11], v[8:9]
	ds_write2_b64 v129, v[6:7], v[8:9] offset0:2 offset1:3
	v_pk_mul_f32 v[6:7], v[106:107], s[14:15] op_sel_hi:[1,0]
	v_pk_mul_f32 v[8:9], v[184:185], s[34:35] op_sel_hi:[1,0]
	v_pk_fma_f32 v[114:115], v[180:181], s[12:13], v[6:7] op_sel:[0,0,1] op_sel_hi:[1,0,0]
	v_pk_fma_f32 v[116:117], v[180:181], s[12:13], v[6:7] op_sel:[0,0,1] op_sel_hi:[1,0,0] neg_lo:[0,0,1] neg_hi:[0,0,1]
	v_mov_b32_e32 v6, v114
	v_mov_b32_e32 v7, v117
	v_pk_fma_f32 v[112:113], v[182:183], s[16:17], v[8:9] op_sel:[0,0,1] op_sel_hi:[1,0,0]
	v_pk_fma_f32 v[178:179], v[182:183], s[16:17], v[8:9] op_sel:[0,0,1] op_sel_hi:[1,0,0] neg_lo:[0,0,1] neg_hi:[0,0,1]
	v_pk_add_f32 v[6:7], v[104:105], v[6:7]
	v_mov_b32_e32 v8, v112
	v_mov_b32_e32 v9, v179
	v_pk_add_f32 v[6:7], v[8:9], v[6:7]
	v_pk_mul_f32 v[8:9], v[122:123], s[30:31] op_sel_hi:[1,0]
	s_mov_b32 s36, 0x3f52af12
	v_pk_fma_f32 v[118:119], v[186:187], s[0:1], v[8:9] op_sel:[0,0,1] op_sel_hi:[1,0,0]
	v_pk_fma_f32 v[120:121], v[186:187], s[0:1], v[8:9] op_sel:[0,0,1] op_sel_hi:[1,0,0] neg_lo:[0,0,1] neg_hi:[0,0,1]
	v_mov_b32_e32 v8, v118
	v_mov_b32_e32 v9, v121
	v_pk_add_f32 v[6:7], v[8:9], v[6:7]
	v_pk_mul_f32 v[8:9], v[188:189], s[28:29] op_sel_hi:[1,0]
	v_mov_b32_e32 v117, v115
	v_pk_fma_f32 v[126:127], v[124:125], s[10:11], v[8:9] op_sel:[0,0,1] op_sel_hi:[1,0,0]
	v_pk_fma_f32 v[174:175], v[124:125], s[10:11], v[8:9] op_sel:[0,0,1] op_sel_hi:[1,0,0] neg_lo:[0,0,1] neg_hi:[0,0,1]
	v_mov_b32_e32 v8, v126
	v_mov_b32_e32 v9, v175
	v_pk_add_f32 v[8:9], v[8:9], v[6:7]
	v_pk_mul_f32 v[6:7], v[192:193], s[38:39] op_sel_hi:[1,0]
	v_mov_b32_e32 v179, v113
	v_pk_fma_f32 v[176:177], v[190:191], s[22:23], v[6:7] op_sel:[0,0,1] op_sel_hi:[1,0,0]
	v_pk_fma_f32 v[6:7], v[190:191], s[22:23], v[6:7] op_sel:[0,0,1] op_sel_hi:[1,0,0] neg_lo:[0,0,1] neg_hi:[0,0,1]
	v_mov_b32_e32 v10, v176
	v_mov_b32_e32 v11, v7
	v_pk_add_f32 v[110:111], v[10:11], v[8:9]
	v_pk_mul_f32 v[10:11], v[108:109], s[36:37] op_sel_hi:[1,0]
	v_mov_b32_e32 v121, v119
	v_pk_fma_f32 v[8:9], v[194:195], s[8:9], v[10:11] op_sel:[0,0,1] op_sel_hi:[1,0,0]
	v_pk_fma_f32 v[10:11], v[194:195], s[8:9], v[10:11] op_sel:[0,0,1] op_sel_hi:[1,0,0] neg_lo:[0,0,1] neg_hi:[0,0,1]
	v_mov_b32_e32 v196, v8
	v_mov_b32_e32 v197, v11
	v_pk_add_f32 v[110:111], v[196:197], v[110:111]
	v_pk_mul_f32 v[196:197], v[106:107], s[18:19] op_sel_hi:[1,0]
	v_mov_b32_e32 v175, v127
	v_pk_fma_f32 v[12:13], v[180:181], s[16:17], v[196:197] op_sel:[0,0,1] op_sel_hi:[1,0,0]
	v_pk_fma_f32 v[130:131], v[180:181], s[16:17], v[196:197] op_sel:[0,0,1] op_sel_hi:[1,0,0] neg_lo:[0,0,1] neg_hi:[0,0,1]
	v_pk_mul_f32 v[196:197], v[184:185], s[26:27] op_sel_hi:[1,0]
	v_mov_b32_e32 v14, v12
	v_mov_b32_e32 v15, v131
	v_pk_fma_f32 v[142:143], v[182:183], s[10:11], v[196:197] op_sel:[0,0,1] op_sel_hi:[1,0,0]
	v_pk_fma_f32 v[152:153], v[182:183], s[10:11], v[196:197] op_sel:[0,0,1] op_sel_hi:[1,0,0] neg_lo:[0,0,1] neg_hi:[0,0,1]
	v_pk_add_f32 v[14:15], v[104:105], v[14:15]
	v_mov_b32_e32 v196, v142
	v_mov_b32_e32 v197, v153
	v_pk_add_f32 v[14:15], v[196:197], v[14:15]
	v_pk_mul_f32 v[196:197], v[122:123], s[20:21] op_sel_hi:[1,0]
	v_mov_b32_e32 v131, v13
	v_pk_fma_f32 v[4:5], v[186:187], s[8:9], v[196:197] op_sel:[0,0,1] op_sel_hi:[1,0,0]
	v_pk_fma_f32 v[0:1], v[186:187], s[8:9], v[196:197] op_sel:[0,0,1] op_sel_hi:[1,0,0] neg_lo:[0,0,1] neg_hi:[0,0,1]
	v_mov_b32_e32 v196, v4
	v_mov_b32_e32 v197, v1
	v_pk_add_f32 v[14:15], v[196:197], v[14:15]
	v_pk_mul_f32 v[196:197], v[188:189], s[38:39] op_sel_hi:[1,0]
	v_mov_b32_e32 v153, v143
	v_pk_fma_f32 v[230:231], v[124:125], s[22:23], v[196:197] op_sel:[0,0,1] op_sel_hi:[1,0,0]
	v_pk_fma_f32 v[164:165], v[124:125], s[22:23], v[196:197] op_sel:[0,0,1] op_sel_hi:[1,0,0] neg_lo:[0,0,1] neg_hi:[0,0,1]
	v_mov_b32_e32 v196, v230
	v_mov_b32_e32 v197, v165
	v_pk_add_f32 v[14:15], v[196:197], v[14:15]
	v_pk_mul_f32 v[196:197], v[192:193], s[30:31] op_sel_hi:[1,0]
	v_pk_add_f32 v[12:13], v[104:105], v[130:131]
	v_pk_fma_f32 v[238:239], v[190:191], s[0:1], v[196:197] op_sel:[0,0,1] op_sel_hi:[1,0,0]
	v_pk_fma_f32 v[234:235], v[190:191], s[0:1], v[196:197] op_sel:[0,0,1] op_sel_hi:[1,0,0] neg_lo:[0,0,1] neg_hi:[0,0,1]
	v_mov_b32_e32 v1, v5
	v_pk_add_f32 v[4:5], v[104:105], v[116:117]
	v_mov_b32_e32 v196, v238
	v_mov_b32_e32 v197, v235
	v_pk_add_f32 v[12:13], v[152:153], v[12:13]
	v_pk_add_f32 v[4:5], v[178:179], v[4:5]
	;; [unrolled: 1-line block ×3, first 2 shown]
	v_pk_mul_f32 v[196:197], v[108:109], s[14:15] op_sel_hi:[1,0]
	v_pk_add_f32 v[0:1], v[0:1], v[12:13]
	v_mov_b32_e32 v165, v231
	v_pk_add_f32 v[4:5], v[120:121], v[4:5]
	v_pk_fma_f32 v[246:247], v[194:195], s[12:13], v[196:197] op_sel:[0,0,1] op_sel_hi:[1,0,0]
	v_pk_fma_f32 v[242:243], v[194:195], s[12:13], v[196:197] op_sel:[0,0,1] op_sel_hi:[1,0,0] neg_lo:[0,0,1] neg_hi:[0,0,1]
	v_pk_add_f32 v[0:1], v[164:165], v[0:1]
	v_mov_b32_e32 v235, v239
	v_pk_add_f32 v[4:5], v[174:175], v[4:5]
	v_mov_b32_e32 v7, v177
	v_mov_b32_e32 v197, v243
	v_pk_add_f32 v[0:1], v[234:235], v[0:1]
	v_mov_b32_e32 v243, v247
	v_pk_add_f32 v[4:5], v[6:7], v[4:5]
	;; [unrolled: 2-line block ×3, first 2 shown]
	v_pk_add_f32 v[4:5], v[10:11], v[4:5]
	v_mov_b32_e32 v147, v149
	v_mov_b32_e32 v196, v246
	ds_write2_b64 v129, v[0:1], v[4:5] offset0:8 offset1:9
	v_pk_add_f32 v[0:1], v[104:105], v[146:147]
	v_mov_b32_e32 v151, v155
	v_pk_add_f32 v[14:15], v[196:197], v[14:15]
	v_pk_add_f32 v[0:1], v[150:151], v[0:1]
	v_mov_b32_e32 v157, v159
	ds_write2_b64 v129, v[110:111], v[14:15] offset0:4 offset1:5
	v_pk_mul_f32 v[14:15], v[106:107], s[24:25] op_sel_hi:[1,0]
	v_pk_add_f32 v[0:1], v[156:157], v[0:1]
	v_mov_b32_e32 v161, v139
	v_pk_fma_f32 v[106:107], v[180:181], s[22:23], v[14:15] op_sel:[0,0,1] op_sel_hi:[1,0,0]
	v_pk_fma_f32 v[14:15], v[180:181], s[22:23], v[14:15] op_sel:[0,0,1] op_sel_hi:[1,0,0] neg_lo:[0,0,1] neg_hi:[0,0,1]
	v_pk_mul_f32 v[180:181], v[184:185], s[30:31] op_sel_hi:[1,0]
	v_pk_add_f32 v[0:1], v[160:161], v[0:1]
	v_mov_b32_e32 v19, v135
	v_mov_b32_e32 v110, v106
	v_mov_b32_e32 v111, v15
	v_pk_fma_f32 v[184:185], v[182:183], s[0:1], v[180:181] op_sel:[0,0,1] op_sel_hi:[1,0,0]
	v_pk_fma_f32 v[180:181], v[182:183], s[0:1], v[180:181] op_sel:[0,0,1] op_sel_hi:[1,0,0] neg_lo:[0,0,1] neg_hi:[0,0,1]
	v_pk_add_f32 v[0:1], v[18:19], v[0:1]
	v_mov_b32_e32 v3, v17
	v_mov_b32_e32 v249, v225
	v_pk_add_f32 v[110:111], v[104:105], v[110:111]
	v_mov_b32_e32 v182, v184
	v_mov_b32_e32 v183, v181
	v_pk_mul_f32 v[122:123], v[122:123], s[18:19] op_sel_hi:[1,0]
	v_pk_add_f32 v[0:1], v[2:3], v[0:1]
	v_pk_add_f32 v[2:3], v[104:105], v[248:249]
	v_mov_b32_e32 v253, v229
	v_pk_add_f32 v[110:111], v[182:183], v[110:111]
	v_pk_fma_f32 v[182:183], v[186:187], s[16:17], v[122:123] op_sel:[0,0,1] op_sel_hi:[1,0,0]
	v_pk_fma_f32 v[122:123], v[186:187], s[16:17], v[122:123] op_sel:[0,0,1] op_sel_hi:[1,0,0] neg_lo:[0,0,1] neg_hi:[0,0,1]
	v_pk_add_f32 v[2:3], v[252:253], v[2:3]
	v_mov_b32_e32 v255, v227
	v_mov_b32_e32 v186, v182
	;; [unrolled: 1-line block ×3, first 2 shown]
	v_pk_add_f32 v[2:3], v[254:255], v[2:3]
	v_mov_b32_e32 v133, v223
	v_pk_add_f32 v[110:111], v[186:187], v[110:111]
	v_pk_mul_f32 v[186:187], v[188:189], s[36:37] op_sel_hi:[1,0]
	v_pk_add_f32 v[2:3], v[132:133], v[2:3]
	v_mov_b32_e32 v137, v163
	v_pk_fma_f32 v[188:189], v[124:125], s[8:9], v[186:187] op_sel:[0,0,1] op_sel_hi:[1,0,0]
	v_pk_fma_f32 v[124:125], v[124:125], s[8:9], v[186:187] op_sel:[0,0,1] op_sel_hi:[1,0,0] neg_lo:[0,0,1] neg_hi:[0,0,1]
	v_pk_add_f32 v[2:3], v[136:137], v[2:3]
	v_mov_b32_e32 v141, v145
	v_mov_b32_e32 v186, v188
	;; [unrolled: 1-line block ×4, first 2 shown]
	v_pk_add_f32 v[2:3], v[140:141], v[2:3]
	v_accvgpr_read_b32 v225, a57
	v_pk_add_f32 v[110:111], v[186:187], v[110:111]
	v_pk_mul_f32 v[186:187], v[192:193], s[14:15] op_sel_hi:[1,0]
	v_mov_b32_e32 v181, v185
	v_pk_add_f32 v[14:15], v[104:105], v[14:15]
	ds_write2_b64 v129, v[0:1], v[2:3] offset0:10 offset1:11
	v_pk_add_f32 v[0:1], v[104:105], v[224:225]
	v_accvgpr_read_b32 v229, a69
	v_pk_fma_f32 v[192:193], v[190:191], s[12:13], v[186:187] op_sel:[0,0,1] op_sel_hi:[1,0,0]
	v_pk_fma_f32 v[186:187], v[190:191], s[12:13], v[186:187] op_sel:[0,0,1] op_sel_hi:[1,0,0] neg_lo:[0,0,1] neg_hi:[0,0,1]
	v_pk_add_f32 v[14:15], v[180:181], v[14:15]
	v_mov_b32_e32 v123, v183
	v_pk_add_f32 v[0:1], v[228:229], v[0:1]
	v_accvgpr_read_b32 v233, a71
	v_mov_b32_e32 v190, v192
	v_mov_b32_e32 v191, v187
	v_pk_mul_f32 v[108:109], v[108:109], s[26:27] op_sel_hi:[1,0]
	v_pk_add_f32 v[14:15], v[122:123], v[14:15]
	v_mov_b32_e32 v125, v189
	v_pk_add_f32 v[0:1], v[232:233], v[0:1]
	v_accvgpr_read_b32 v237, a73
	v_pk_add_f32 v[110:111], v[190:191], v[110:111]
	v_pk_fma_f32 v[190:191], v[194:195], s[10:11], v[108:109] op_sel:[0,0,1] op_sel_hi:[1,0,0]
	v_pk_fma_f32 v[108:109], v[194:195], s[10:11], v[108:109] op_sel:[0,0,1] op_sel_hi:[1,0,0] neg_lo:[0,0,1] neg_hi:[0,0,1]
	v_pk_add_f32 v[14:15], v[124:125], v[14:15]
	v_mov_b32_e32 v187, v193
	v_pk_add_f32 v[0:1], v[236:237], v[0:1]
	v_accvgpr_read_b32 v241, a75
	v_mov_b32_e32 v194, v190
	v_mov_b32_e32 v195, v109
	v_pk_add_f32 v[14:15], v[186:187], v[14:15]
	v_mov_b32_e32 v109, v191
	v_pk_add_f32 v[0:1], v[240:241], v[0:1]
	v_accvgpr_read_b32 v245, a77
	v_mov_b32_e32 v36, v37
	v_accvgpr_write_b32 a64, v38
	v_accvgpr_write_b32 a65, v38
	v_mov_b32_e32 v38, v39
	v_mov_b32_e32 v32, v33
	v_accvgpr_write_b32 a60, v34
	v_accvgpr_write_b32 a61, v34
	v_mov_b32_e32 v34, v35
	v_mov_b32_e32 v28, v29
	;; [unrolled: 1-line block ×5, first 2 shown]
	v_pk_add_f32 v[110:111], v[194:195], v[110:111]
	v_mov_b32_e32 v214, v24
	v_mov_b32_e32 v215, v24
	;; [unrolled: 1-line block ×33, first 2 shown]
	v_pk_add_f32 v[14:15], v[108:109], v[14:15]
	v_mov_b32_e32 v194, v46
	v_mov_b32_e32 v195, v46
	;; [unrolled: 1-line block ×69, first 2 shown]
	v_pk_add_f32 v[0:1], v[244:245], v[0:1]
	ds_write2_b64 v129, v[110:111], v[14:15] offset0:6 offset1:7
	ds_write_b64 v129, v[0:1] offset:96
	s_and_saveexec_b64 s[44:45], vcc
	s_cbranch_execz .LBB0_13
; %bb.12:
	v_pk_add_f32 v[0:1], v[102:103], v[100:101]
	v_accvgpr_read_b32 v6, a36
	v_pk_add_f32 v[0:1], v[168:169], v[0:1]
	v_accvgpr_read_b32 v7, a37
	;; [unrolled: 2-line block ×3, first 2 shown]
	v_accvgpr_read_b32 v9, a39
	v_pk_add_f32 v[0:1], v[6:7], v[0:1]
	v_accvgpr_read_b32 v14, a44
	v_pk_add_f32 v[0:1], v[8:9], v[0:1]
	v_accvgpr_read_b32 v15, a45
	v_accvgpr_read_b32 v16, a46
	;; [unrolled: 1-line block ×3, first 2 shown]
	v_pk_add_f32 v[0:1], v[14:15], v[0:1]
	v_accvgpr_read_b32 v10, a40
	v_accvgpr_read_b32 v2, a56
	v_pk_add_f32 v[0:1], v[16:17], v[0:1]
	v_accvgpr_read_b32 v11, a41
	v_accvgpr_read_b32 v19, a1
	v_lshlrev_b32_e32 v129, 3, v2
	v_accvgpr_read_b32 v12, a42
	v_accvgpr_read_b32 v13, a43
	v_pk_add_f32 v[0:1], v[10:11], v[0:1]
	v_accvgpr_read_b32 v2, a32
	v_accvgpr_read_b32 v18, a0
	v_accvgpr_write_b32 a36, v152
	v_pk_add_f32 v[0:1], v[12:13], v[0:1]
	v_accvgpr_read_b32 v3, a33
	v_accvgpr_read_b32 v4, a34
	;; [unrolled: 1-line block ×3, first 2 shown]
	v_accvgpr_write_b32 a34, v142
	v_accvgpr_write_b32 a37, v153
	v_pk_add_f32 v[152:153], v[102:103], v[18:19] neg_lo:[0,1] neg_hi:[0,1]
	v_accvgpr_write_b32 a38, v164
	v_pk_add_f32 v[0:1], v[2:3], v[0:1]
	v_accvgpr_write_b32 a35, v143
	v_pk_add_f32 v[142:143], v[18:19], v[102:103]
	v_accvgpr_write_b32 a39, v165
	v_pk_add_f32 v[164:165], v[168:169], v[4:5] neg_lo:[0,1] neg_hi:[0,1]
	v_pk_add_f32 v[222:223], v[2:3], v[170:171]
	v_pk_add_f32 v[224:225], v[170:171], v[2:3] neg_lo:[0,1] neg_hi:[0,1]
	v_pk_mul_f32 v[2:3], v[152:153], s[40:41] op_sel_hi:[1,0]
	v_pk_add_f32 v[0:1], v[4:5], v[0:1]
	v_pk_add_f32 v[162:163], v[4:5], v[168:169]
	;; [unrolled: 1-line block ×3, first 2 shown]
	v_pk_add_f32 v[228:229], v[6:7], v[12:13] neg_lo:[0,1] neg_hi:[0,1]
	v_accvgpr_write_b32 a40, v230
	v_pk_fma_f32 v[4:5], v[142:143], s[0:1], v[2:3] op_sel:[0,0,1] op_sel_hi:[1,0,0]
	v_pk_fma_f32 v[2:3], v[142:143], s[0:1], v[2:3] op_sel:[0,0,1] op_sel_hi:[1,0,0] neg_lo:[0,0,1] neg_hi:[0,0,1]
	v_pk_mul_f32 v[6:7], v[164:165], s[20:21] op_sel_hi:[1,0]
	v_accvgpr_write_b32 a41, v231
	v_pk_add_f32 v[230:231], v[10:11], v[8:9]
	v_pk_add_f32 v[232:233], v[8:9], v[10:11] neg_lo:[0,1] neg_hi:[0,1]
	v_accvgpr_write_b32 a57, v5
	v_mov_b32_e32 v5, v3
	v_pk_fma_f32 v[10:11], v[162:163], s[8:9], v[6:7] op_sel:[0,0,1] op_sel_hi:[1,0,0]
	v_pk_fma_f32 v[6:7], v[162:163], s[8:9], v[6:7] op_sel:[0,0,1] op_sel_hi:[1,0,0] neg_lo:[0,0,1] neg_hi:[0,0,1]
	v_pk_add_f32 v[8:9], v[100:101], v[4:5]
	v_accvgpr_write_b32 a69, v11
	v_mov_b32_e32 v11, v7
	v_accvgpr_write_b32 a42, v234
	v_pk_add_f32 v[12:13], v[10:11], v[8:9]
	v_pk_mul_f32 v[10:11], v[224:225], s[28:29] op_sel_hi:[1,0]
	v_pk_add_f32 v[160:161], v[16:17], v[14:15]
	v_accvgpr_write_b32 a43, v235
	v_pk_add_f32 v[234:235], v[14:15], v[16:17] neg_lo:[0,1] neg_hi:[0,1]
	v_pk_fma_f32 v[14:15], v[222:223], s[10:11], v[10:11] op_sel:[0,0,1] op_sel_hi:[1,0,0]
	v_pk_fma_f32 v[10:11], v[222:223], s[10:11], v[10:11] op_sel:[0,0,1] op_sel_hi:[1,0,0] neg_lo:[0,0,1] neg_hi:[0,0,1]
	v_accvgpr_write_b32 a71, v15
	v_mov_b32_e32 v15, v11
	v_accvgpr_write_b32 a32, v130
	v_pk_add_f32 v[16:17], v[14:15], v[12:13]
	v_pk_mul_f32 v[14:15], v[228:229], s[14:15] op_sel_hi:[1,0]
	v_accvgpr_write_b32 a33, v131
	v_pk_add_f32 v[130:131], v[18:19], v[0:1]
	v_pk_fma_f32 v[18:19], v[226:227], s[12:13], v[14:15] op_sel:[0,0,1] op_sel_hi:[1,0,0]
	v_pk_fma_f32 v[14:15], v[226:227], s[12:13], v[14:15] op_sel:[0,0,1] op_sel_hi:[1,0,0] neg_lo:[0,0,1] neg_hi:[0,0,1]
	v_accvgpr_write_b32 a73, v19
	v_mov_b32_e32 v19, v15
	v_pk_add_f32 v[102:103], v[18:19], v[16:17]
	v_pk_mul_f32 v[18:19], v[232:233], s[18:19] op_sel_hi:[1,0]
	v_pk_mul_f32 v[138:139], v[164:165], s[14:15] op_sel_hi:[1,0]
	v_pk_fma_f32 v[104:105], v[230:231], s[16:17], v[18:19] op_sel:[0,0,1] op_sel_hi:[1,0,0]
	v_pk_fma_f32 v[18:19], v[230:231], s[16:17], v[18:19] op_sel:[0,0,1] op_sel_hi:[1,0,0] neg_lo:[0,0,1] neg_hi:[0,0,1]
	v_accvgpr_write_b32 a75, v105
	v_mov_b32_e32 v105, v19
	v_pk_add_f32 v[132:133], v[104:105], v[102:103]
	v_pk_mul_f32 v[104:105], v[234:235], s[24:25] op_sel_hi:[1,0]
	v_pk_fma_f32 v[140:141], v[162:163], s[12:13], v[138:139] op_sel:[0,0,1] op_sel_hi:[1,0,0]
	v_pk_fma_f32 v[134:135], v[160:161], s[22:23], v[104:105] op_sel:[0,0,1] op_sel_hi:[1,0,0]
	v_pk_fma_f32 v[104:105], v[160:161], s[22:23], v[104:105] op_sel:[0,0,1] op_sel_hi:[1,0,0] neg_lo:[0,0,1] neg_hi:[0,0,1]
	v_accvgpr_write_b32 a77, v135
	v_mov_b32_e32 v135, v105
	v_pk_add_f32 v[132:133], v[134:135], v[132:133]
	ds_write2_b64 v129, v[130:131], v[132:133] offset1:1
	v_pk_mul_f32 v[130:131], v[152:153], s[20:21] op_sel_hi:[1,0]
	v_pk_fma_f32 v[138:139], v[162:163], s[12:13], v[138:139] op_sel:[0,0,1] op_sel_hi:[1,0,0] neg_lo:[0,0,1] neg_hi:[0,0,1]
	v_pk_fma_f32 v[0:1], v[142:143], s[8:9], v[130:131] op_sel:[0,0,1] op_sel_hi:[1,0,0]
	v_pk_fma_f32 v[134:135], v[142:143], s[8:9], v[130:131] op_sel:[0,0,1] op_sel_hi:[1,0,0] neg_lo:[0,0,1] neg_hi:[0,0,1]
	v_mov_b32_e32 v130, v0
	v_mov_b32_e32 v131, v135
	v_pk_mul_f32 v[144:145], v[224:225], s[24:25] op_sel_hi:[1,0]
	v_pk_add_f32 v[130:131], v[100:101], v[130:131]
	v_mov_b32_e32 v15, v141
	v_mov_b32_e32 v141, v139
	v_pk_fma_f32 v[146:147], v[222:223], s[22:23], v[144:145] op_sel:[0,0,1] op_sel_hi:[1,0,0]
	v_pk_fma_f32 v[144:145], v[222:223], s[22:23], v[144:145] op_sel:[0,0,1] op_sel_hi:[1,0,0] neg_lo:[0,0,1] neg_hi:[0,0,1]
	v_pk_mul_f32 v[148:149], v[228:229], s[34:35] op_sel_hi:[1,0]
	v_pk_add_f32 v[130:131], v[140:141], v[130:131]
	v_mov_b32_e32 v19, v147
	v_mov_b32_e32 v147, v145
	v_pk_fma_f32 v[150:151], v[226:227], s[16:17], v[148:149] op_sel:[0,0,1] op_sel_hi:[1,0,0]
	v_pk_fma_f32 v[148:149], v[226:227], s[16:17], v[148:149] op_sel:[0,0,1] op_sel_hi:[1,0,0] neg_lo:[0,0,1] neg_hi:[0,0,1]
	;; [unrolled: 6-line block ×3, first 2 shown]
	v_pk_mul_f32 v[158:159], v[234:235], s[30:31] op_sel_hi:[1,0]
	v_pk_add_f32 v[130:131], v[150:151], v[130:131]
	v_accvgpr_write_b32 a79, v157
	v_mov_b32_e32 v157, v155
	v_pk_fma_f32 v[236:237], v[160:161], s[0:1], v[158:159] op_sel:[0,0,1] op_sel_hi:[1,0,0]
	v_pk_fma_f32 v[158:159], v[160:161], s[0:1], v[158:159] op_sel:[0,0,1] op_sel_hi:[1,0,0] neg_lo:[0,0,1] neg_hi:[0,0,1]
	v_pk_add_f32 v[130:131], v[156:157], v[130:131]
	v_accvgpr_write_b32 a81, v237
	v_mov_b32_e32 v237, v159
	v_pk_add_f32 v[130:131], v[236:237], v[130:131]
	v_pk_mul_f32 v[236:237], v[152:153], s[28:29] op_sel_hi:[1,0]
	v_pk_mul_f32 v[242:243], v[164:165], s[24:25] op_sel_hi:[1,0]
	v_pk_fma_f32 v[240:241], v[142:143], s[10:11], v[236:237] op_sel:[0,0,1] op_sel_hi:[1,0,0]
	v_pk_fma_f32 v[236:237], v[142:143], s[10:11], v[236:237] op_sel:[0,0,1] op_sel_hi:[1,0,0] neg_lo:[0,0,1] neg_hi:[0,0,1]
	v_mov_b32_e32 v135, v241
	v_mov_b32_e32 v241, v237
	v_pk_fma_f32 v[246:247], v[162:163], s[22:23], v[242:243] op_sel:[0,0,1] op_sel_hi:[1,0,0]
	v_pk_fma_f32 v[242:243], v[162:163], s[22:23], v[242:243] op_sel:[0,0,1] op_sel_hi:[1,0,0] neg_lo:[0,0,1] neg_hi:[0,0,1]
	v_pk_add_f32 v[240:241], v[100:101], v[240:241]
	v_mov_b32_e32 v139, v247
	v_mov_b32_e32 v247, v243
	v_pk_add_f32 v[240:241], v[246:247], v[240:241]
	v_pk_mul_f32 v[246:247], v[224:225], s[42:43] op_sel_hi:[1,0]
	v_mov_b32_e32 v11, v1
	v_pk_fma_f32 v[252:253], v[222:223], s[12:13], v[246:247] op_sel:[0,0,1] op_sel_hi:[1,0,0]
	v_pk_fma_f32 v[246:247], v[222:223], s[12:13], v[246:247] op_sel:[0,0,1] op_sel_hi:[1,0,0] neg_lo:[0,0,1] neg_hi:[0,0,1]
	v_mov_b32_e32 v145, v253
	v_mov_b32_e32 v253, v247
	v_pk_add_f32 v[240:241], v[252:253], v[240:241]
	v_pk_mul_f32 v[252:253], v[228:229], s[30:31] op_sel_hi:[1,0]
	v_accvgpr_write_b32 a0, v250
	v_pk_fma_f32 v[254:255], v[226:227], s[0:1], v[252:253] op_sel:[0,0,1] op_sel_hi:[1,0,0]
	v_pk_fma_f32 v[252:253], v[226:227], s[0:1], v[252:253] op_sel:[0,0,1] op_sel_hi:[1,0,0] neg_lo:[0,0,1] neg_hi:[0,0,1]
	v_mov_b32_e32 v149, v255
	v_mov_b32_e32 v255, v253
	v_pk_add_f32 v[240:241], v[254:255], v[240:241]
	v_pk_mul_f32 v[254:255], v[232:233], s[20:21] op_sel_hi:[1,0]
	v_accvgpr_write_b32 a1, v251
	v_pk_fma_f32 v[248:249], v[230:231], s[8:9], v[254:255] op_sel:[0,0,1] op_sel_hi:[1,0,0]
	v_pk_fma_f32 v[254:255], v[230:231], s[8:9], v[254:255] op_sel:[0,0,1] op_sel_hi:[1,0,0] neg_lo:[0,0,1] neg_hi:[0,0,1]
	v_mov_b32_e32 v0, v248
	v_mov_b32_e32 v1, v255
	v_pk_add_f32 v[0:1], v[0:1], v[240:241]
	v_pk_mul_f32 v[240:241], v[234:235], s[18:19] op_sel_hi:[1,0]
	v_pk_mul_f32 v[250:251], v[164:165], s[34:35] op_sel_hi:[1,0]
	v_pk_fma_f32 v[244:245], v[160:161], s[16:17], v[240:241] op_sel:[0,0,1] op_sel_hi:[1,0,0]
	v_pk_fma_f32 v[240:241], v[160:161], s[16:17], v[240:241] op_sel:[0,0,1] op_sel_hi:[1,0,0] neg_lo:[0,0,1] neg_hi:[0,0,1]
	v_mov_b32_e32 v4, v244
	v_mov_b32_e32 v5, v241
	v_pk_add_f32 v[0:1], v[4:5], v[0:1]
	ds_write2_b64 v129, v[130:131], v[0:1] offset0:2 offset1:3
	v_pk_mul_f32 v[0:1], v[152:153], s[14:15] op_sel_hi:[1,0]
	v_pk_fma_f32 v[150:151], v[162:163], s[16:17], v[250:251] op_sel:[0,0,1] op_sel_hi:[1,0,0]
	v_pk_fma_f32 v[156:157], v[142:143], s[12:13], v[0:1] op_sel:[0,0,1] op_sel_hi:[1,0,0]
	v_pk_fma_f32 v[0:1], v[142:143], s[12:13], v[0:1] op_sel:[0,0,1] op_sel_hi:[1,0,0] neg_lo:[0,0,1] neg_hi:[0,0,1]
	v_mov_b32_e32 v130, v156
	v_mov_b32_e32 v131, v1
	v_pk_fma_f32 v[250:251], v[162:163], s[16:17], v[250:251] op_sel:[0,0,1] op_sel_hi:[1,0,0] neg_lo:[0,0,1] neg_hi:[0,0,1]
	v_pk_add_f32 v[130:131], v[100:101], v[130:131]
	v_mov_b32_e32 v166, v150
	v_mov_b32_e32 v3, v167
	;; [unrolled: 1-line block ×3, first 2 shown]
	v_pk_add_f32 v[130:131], v[166:167], v[130:131]
	v_pk_mul_f32 v[166:167], v[224:225], s[30:31] op_sel_hi:[1,0]
	v_pk_mul_f32 v[108:109], v[164:165], s[26:27] op_sel_hi:[1,0]
	v_pk_fma_f32 v[146:147], v[222:223], s[0:1], v[166:167] op_sel:[0,0,1] op_sel_hi:[1,0,0]
	v_pk_fma_f32 v[166:167], v[222:223], s[0:1], v[166:167] op_sel:[0,0,1] op_sel_hi:[1,0,0] neg_lo:[0,0,1] neg_hi:[0,0,1]
	v_mov_b32_e32 v170, v146
	v_mov_b32_e32 v171, v167
	v_pk_add_f32 v[130:131], v[170:171], v[130:131]
	v_pk_mul_f32 v[170:171], v[228:229], s[28:29] op_sel_hi:[1,0]
	v_pk_fma_f32 v[168:169], v[162:163], s[10:11], v[108:109] op_sel:[0,0,1] op_sel_hi:[1,0,0]
	v_pk_fma_f32 v[140:141], v[226:227], s[10:11], v[170:171] op_sel:[0,0,1] op_sel_hi:[1,0,0]
	v_pk_fma_f32 v[170:171], v[226:227], s[10:11], v[170:171] op_sel:[0,0,1] op_sel_hi:[1,0,0] neg_lo:[0,0,1] neg_hi:[0,0,1]
	v_mov_b32_e32 v4, v140
	v_mov_b32_e32 v5, v171
	v_pk_add_f32 v[4:5], v[4:5], v[130:131]
	v_pk_mul_f32 v[130:131], v[232:233], s[38:39] op_sel_hi:[1,0]
	v_pk_fma_f32 v[108:109], v[162:163], s[10:11], v[108:109] op_sel:[0,0,1] op_sel_hi:[1,0,0] neg_lo:[0,0,1] neg_hi:[0,0,1]
	v_pk_fma_f32 v[136:137], v[230:231], s[22:23], v[130:131] op_sel:[0,0,1] op_sel_hi:[1,0,0]
	v_pk_fma_f32 v[130:131], v[230:231], s[22:23], v[130:131] op_sel:[0,0,1] op_sel_hi:[1,0,0] neg_lo:[0,0,1] neg_hi:[0,0,1]
	v_mov_b32_e32 v8, v136
	v_mov_b32_e32 v9, v131
	v_pk_add_f32 v[4:5], v[8:9], v[4:5]
	v_pk_mul_f32 v[8:9], v[234:235], s[36:37] op_sel_hi:[1,0]
	v_accvgpr_write_b32 a44, v238
	v_pk_fma_f32 v[132:133], v[160:161], s[8:9], v[8:9] op_sel:[0,0,1] op_sel_hi:[1,0,0]
	v_pk_fma_f32 v[8:9], v[160:161], s[8:9], v[8:9] op_sel:[0,0,1] op_sel_hi:[1,0,0] neg_lo:[0,0,1] neg_hi:[0,0,1]
	v_mov_b32_e32 v12, v132
	v_mov_b32_e32 v13, v9
	v_pk_add_f32 v[4:5], v[12:13], v[4:5]
	v_pk_mul_f32 v[12:13], v[152:153], s[18:19] op_sel_hi:[1,0]
	v_accvgpr_write_b32 a45, v239
	v_pk_fma_f32 v[102:103], v[142:143], s[16:17], v[12:13] op_sel:[0,0,1] op_sel_hi:[1,0,0]
	v_pk_fma_f32 v[12:13], v[142:143], s[16:17], v[12:13] op_sel:[0,0,1] op_sel_hi:[1,0,0] neg_lo:[0,0,1] neg_hi:[0,0,1]
	v_mov_b32_e32 v16, v102
	v_mov_b32_e32 v17, v13
	v_pk_add_f32 v[16:17], v[100:101], v[16:17]
	v_mov_b32_e32 v238, v168
	v_mov_b32_e32 v239, v109
	v_pk_add_f32 v[16:17], v[238:239], v[16:17]
	v_pk_mul_f32 v[238:239], v[224:225], s[20:21] op_sel_hi:[1,0]
	v_mov_b32_e32 v1, v172
	v_pk_fma_f32 v[114:115], v[222:223], s[8:9], v[238:239] op_sel:[0,0,1] op_sel_hi:[1,0,0]
	v_pk_fma_f32 v[238:239], v[222:223], s[8:9], v[238:239] op_sel:[0,0,1] op_sel_hi:[1,0,0] neg_lo:[0,0,1] neg_hi:[0,0,1]
	v_mov_b32_e32 v172, v114
	v_mov_b32_e32 v7, v173
	;; [unrolled: 1-line block ×3, first 2 shown]
	v_pk_add_f32 v[16:17], v[172:173], v[16:17]
	v_pk_mul_f32 v[172:173], v[228:229], s[38:39] op_sel_hi:[1,0]
	v_accvgpr_write_b32 a46, v120
	v_pk_fma_f32 v[116:117], v[226:227], s[22:23], v[172:173] op_sel:[0,0,1] op_sel_hi:[1,0,0]
	v_pk_fma_f32 v[172:173], v[226:227], s[22:23], v[172:173] op_sel:[0,0,1] op_sel_hi:[1,0,0] neg_lo:[0,0,1] neg_hi:[0,0,1]
	v_mov_b32_e32 v106, v116
	v_mov_b32_e32 v107, v173
	v_pk_add_f32 v[16:17], v[106:107], v[16:17]
	v_pk_mul_f32 v[106:107], v[232:233], s[30:31] op_sel_hi:[1,0]
	v_accvgpr_write_b32 a47, v121
	v_pk_fma_f32 v[120:121], v[230:231], s[0:1], v[106:107] op_sel:[0,0,1] op_sel_hi:[1,0,0]
	v_pk_fma_f32 v[106:107], v[230:231], s[0:1], v[106:107] op_sel:[0,0,1] op_sel_hi:[1,0,0] neg_lo:[0,0,1] neg_hi:[0,0,1]
	v_mov_b32_e32 v110, v120
	v_mov_b32_e32 v111, v107
	v_pk_add_f32 v[16:17], v[110:111], v[16:17]
	v_pk_mul_f32 v[110:111], v[234:235], s[14:15] op_sel_hi:[1,0]
	v_mov_b32_e32 v13, v103
	v_pk_fma_f32 v[118:119], v[160:161], s[12:13], v[110:111] op_sel:[0,0,1] op_sel_hi:[1,0,0]
	v_pk_fma_f32 v[110:111], v[160:161], s[12:13], v[110:111] op_sel:[0,0,1] op_sel_hi:[1,0,0] neg_lo:[0,0,1] neg_hi:[0,0,1]
	v_mov_b32_e32 v112, v118
	v_mov_b32_e32 v113, v111
	v_pk_add_f32 v[16:17], v[112:113], v[16:17]
	ds_write2_b64 v129, v[4:5], v[16:17] offset0:4 offset1:5
	v_pk_mul_f32 v[4:5], v[152:153], s[24:25] op_sel_hi:[1,0]
	v_mov_b32_e32 v109, v169
	v_pk_fma_f32 v[16:17], v[142:143], s[22:23], v[4:5] op_sel:[0,0,1] op_sel_hi:[1,0,0]
	v_pk_fma_f32 v[4:5], v[142:143], s[22:23], v[4:5] op_sel:[0,0,1] op_sel_hi:[1,0,0] neg_lo:[0,0,1] neg_hi:[0,0,1]
	v_pk_mul_f32 v[142:143], v[164:165], s[30:31] op_sel_hi:[1,0]
	v_mov_b32_e32 v112, v16
	v_mov_b32_e32 v113, v5
	v_pk_fma_f32 v[152:153], v[162:163], s[0:1], v[142:143] op_sel:[0,0,1] op_sel_hi:[1,0,0]
	v_pk_fma_f32 v[142:143], v[162:163], s[0:1], v[142:143] op_sel:[0,0,1] op_sel_hi:[1,0,0] neg_lo:[0,0,1] neg_hi:[0,0,1]
	v_pk_add_f32 v[112:113], v[100:101], v[112:113]
	v_mov_b32_e32 v162, v152
	v_mov_b32_e32 v163, v143
	v_pk_add_f32 v[112:113], v[162:163], v[112:113]
	v_pk_mul_f32 v[162:163], v[224:225], s[18:19] op_sel_hi:[1,0]
	v_mov_b32_e32 v5, v17
	v_pk_fma_f32 v[164:165], v[222:223], s[16:17], v[162:163] op_sel:[0,0,1] op_sel_hi:[1,0,0]
	v_pk_fma_f32 v[162:163], v[222:223], s[16:17], v[162:163] op_sel:[0,0,1] op_sel_hi:[1,0,0] neg_lo:[0,0,1] neg_hi:[0,0,1]
	v_mov_b32_e32 v222, v164
	v_mov_b32_e32 v223, v163
	v_pk_add_f32 v[112:113], v[222:223], v[112:113]
	v_pk_mul_f32 v[222:223], v[228:229], s[36:37] op_sel_hi:[1,0]
	v_pk_add_f32 v[4:5], v[100:101], v[4:5]
	v_pk_fma_f32 v[224:225], v[226:227], s[8:9], v[222:223] op_sel:[0,0,1] op_sel_hi:[1,0,0]
	v_pk_fma_f32 v[222:223], v[226:227], s[8:9], v[222:223] op_sel:[0,0,1] op_sel_hi:[1,0,0] neg_lo:[0,0,1] neg_hi:[0,0,1]
	v_mov_b32_e32 v226, v224
	v_mov_b32_e32 v227, v223
	v_pk_add_f32 v[112:113], v[226:227], v[112:113]
	v_pk_mul_f32 v[226:227], v[232:233], s[14:15] op_sel_hi:[1,0]
	v_mov_b32_e32 v143, v153
	v_pk_fma_f32 v[228:229], v[230:231], s[12:13], v[226:227] op_sel:[0,0,1] op_sel_hi:[1,0,0]
	v_pk_fma_f32 v[226:227], v[230:231], s[12:13], v[226:227] op_sel:[0,0,1] op_sel_hi:[1,0,0] neg_lo:[0,0,1] neg_hi:[0,0,1]
	v_mov_b32_e32 v230, v228
	v_mov_b32_e32 v231, v227
	v_pk_add_f32 v[4:5], v[142:143], v[4:5]
	v_mov_b32_e32 v163, v165
	v_pk_add_f32 v[112:113], v[230:231], v[112:113]
	v_pk_mul_f32 v[230:231], v[234:235], s[26:27] op_sel_hi:[1,0]
	v_pk_add_f32 v[4:5], v[162:163], v[4:5]
	v_mov_b32_e32 v223, v225
	v_pk_fma_f32 v[232:233], v[160:161], s[10:11], v[230:231] op_sel:[0,0,1] op_sel_hi:[1,0,0]
	v_pk_fma_f32 v[160:161], v[160:161], s[10:11], v[230:231] op_sel:[0,0,1] op_sel_hi:[1,0,0] neg_lo:[0,0,1] neg_hi:[0,0,1]
	v_pk_add_f32 v[4:5], v[222:223], v[4:5]
	v_mov_b32_e32 v227, v229
	v_mov_b32_e32 v230, v232
	;; [unrolled: 1-line block ×3, first 2 shown]
	v_pk_add_f32 v[4:5], v[226:227], v[4:5]
	v_mov_b32_e32 v161, v233
	v_pk_add_f32 v[112:113], v[230:231], v[112:113]
	v_pk_add_f32 v[4:5], v[160:161], v[4:5]
	ds_write2_b64 v129, v[112:113], v[4:5] offset0:6 offset1:7
	v_pk_add_f32 v[4:5], v[100:101], v[12:13]
	v_mov_b32_e32 v239, v115
	v_pk_add_f32 v[4:5], v[108:109], v[4:5]
	v_mov_b32_e32 v173, v117
	;; [unrolled: 2-line block ×4, first 2 shown]
	v_mov_b32_e32 v1, v157
	v_pk_add_f32 v[0:1], v[100:101], v[0:1]
	v_mov_b32_e32 v167, v147
	v_pk_add_f32 v[0:1], v[250:251], v[0:1]
	;; [unrolled: 2-line block ×7, first 2 shown]
	v_pk_add_f32 v[0:1], v[8:9], v[0:1]
	v_mov_b32_e32 v237, v135
	v_mov_b32_e32 v135, v11
	ds_write2_b64 v129, v[4:5], v[0:1] offset0:8 offset1:9
	v_pk_add_f32 v[0:1], v[100:101], v[236:237]
	v_mov_b32_e32 v243, v139
	v_pk_add_f32 v[4:5], v[100:101], v[134:135]
	v_mov_b32_e32 v139, v15
	;; [unrolled: 2-line block ×7, first 2 shown]
	v_pk_add_f32 v[4:5], v[148:149], v[4:5]
	v_accvgpr_read_b32 v155, a79
	v_pk_add_f32 v[0:1], v[254:255], v[0:1]
	v_mov_b32_e32 v241, v245
	v_pk_add_f32 v[4:5], v[154:155], v[4:5]
	v_accvgpr_read_b32 v159, a81
	v_mov_b32_e32 v167, v3
	v_pk_add_f32 v[0:1], v[240:241], v[0:1]
	v_pk_add_f32 v[4:5], v[158:159], v[4:5]
	v_accvgpr_read_b32 v3, a57
	v_mov_b32_e32 v173, v7
	ds_write2_b64 v129, v[0:1], v[4:5] offset0:10 offset1:11
	v_pk_add_f32 v[0:1], v[100:101], v[2:3]
	v_accvgpr_read_b32 v7, a69
	v_pk_add_f32 v[0:1], v[6:7], v[0:1]
	v_accvgpr_read_b32 v11, a71
	;; [unrolled: 2-line block ×4, first 2 shown]
	v_accvgpr_read_b32 v235, a43
	v_accvgpr_read_b32 v231, a41
	v_accvgpr_read_b32 v153, a37
	v_accvgpr_read_b32 v143, a35
	v_accvgpr_read_b32 v165, a39
	v_accvgpr_read_b32 v239, a45
	v_accvgpr_read_b32 v121, a47
	v_accvgpr_read_b32 v251, a1
	v_accvgpr_read_b32 v131, a33
	v_pk_add_f32 v[0:1], v[18:19], v[0:1]
	v_accvgpr_read_b32 v105, a77
	v_accvgpr_read_b32 v234, a42
	;; [unrolled: 1-line block ×11, first 2 shown]
	v_pk_add_f32 v[0:1], v[104:105], v[0:1]
	ds_write_b64 v129, v[0:1] offset:96
.LBB0_13:
	s_or_b64 exec, exec, s[44:45]
	v_add_u32_e32 v5, 0x1c00, v128
	s_waitcnt lgkmcnt(0)
	s_barrier
	ds_read2_b64 v[0:3], v5 offset0:40 offset1:157
	v_add_u32_e32 v8, 0xc00, v128
	ds_read2_b64 v[12:15], v8 offset0:84 offset1:201
	ds_read_b64 v[6:7], v128 offset:13104
	v_accvgpr_read_b32 v16, a66
	v_accvgpr_read_b32 v17, a67
	s_waitcnt lgkmcnt(2)
	v_pk_mul_f32 v[10:11], v[36:37], v[2:3]
	v_add_u32_e32 v9, 0x2800, v128
	v_pk_fma_f32 v[100:101], v[16:17], v[2:3], v[10:11] op_sel:[0,0,1] op_sel_hi:[1,1,0]
	v_pk_fma_f32 v[2:3], v[16:17], v[2:3], v[10:11] op_sel:[0,0,1] op_sel_hi:[1,1,0] neg_lo:[0,0,1] neg_hi:[0,0,1]
	v_accvgpr_read_b32 v10, a64
	v_mov_b32_e32 v101, v3
	s_waitcnt lgkmcnt(0)
	v_pk_mul_f32 v[2:3], v[38:39], v[6:7]
	v_accvgpr_read_b32 v11, a65
	v_pk_fma_f32 v[102:103], v[10:11], v[6:7], v[2:3] op_sel:[0,0,1] op_sel_hi:[1,1,0]
	v_pk_fma_f32 v[2:3], v[10:11], v[6:7], v[2:3] op_sel:[0,0,1] op_sel_hi:[1,1,0] neg_lo:[0,0,1] neg_hi:[0,0,1]
	s_mov_b32 s0, 0x3f5db3d7
	v_mov_b32_e32 v103, v3
	v_pk_add_f32 v[2:3], v[100:101], v[102:103]
	v_pk_add_f32 v[6:7], v[100:101], v[102:103] neg_lo:[0,1] neg_hi:[0,1]
	ds_read2_b64 v[36:39], v9 offset0:124 offset1:241
	v_pk_fma_f32 v[2:3], v[2:3], 0.5, v[12:13] op_sel_hi:[1,0,1] neg_lo:[1,0,0] neg_hi:[1,0,0]
	v_pk_mul_f32 v[6:7], v[6:7], s[0:1] op_sel_hi:[1,0]
	v_add_u32_e32 v10, 0x400, v128
	v_pk_add_f32 v[104:105], v[2:3], v[6:7] op_sel:[0,1] op_sel_hi:[1,0]
	v_pk_add_f32 v[106:107], v[2:3], v[6:7] op_sel:[0,1] op_sel_hi:[1,0] neg_lo:[0,1] neg_hi:[0,1]
	v_accvgpr_read_b32 v6, a62
	v_pk_mul_f32 v[2:3], v[32:33], v[0:1]
	v_accvgpr_read_b32 v7, a63
	ds_read2_b64 v[16:19], v10 offset0:106 offset1:223
	v_pk_fma_f32 v[108:109], v[6:7], v[0:1], v[2:3] op_sel:[0,0,1] op_sel_hi:[1,1,0]
	v_pk_fma_f32 v[0:1], v[6:7], v[0:1], v[2:3] op_sel:[0,0,1] op_sel_hi:[1,1,0] neg_lo:[0,0,1] neg_hi:[0,0,1]
	v_accvgpr_read_b32 v2, a60
	v_mov_b32_e32 v109, v1
	s_waitcnt lgkmcnt(1)
	v_pk_mul_f32 v[0:1], v[34:35], v[38:39]
	v_accvgpr_read_b32 v3, a61
	v_pk_fma_f32 v[110:111], v[2:3], v[38:39], v[0:1] op_sel:[0,0,1] op_sel_hi:[1,1,0]
	v_pk_fma_f32 v[0:1], v[2:3], v[38:39], v[0:1] op_sel:[0,0,1] op_sel_hi:[1,1,0] neg_lo:[0,0,1] neg_hi:[0,0,1]
	v_add_u32_e32 v7, 0x1400, v128
	v_mov_b32_e32 v111, v1
	v_pk_add_f32 v[0:1], v[108:109], v[110:111]
	v_pk_add_f32 v[34:35], v[108:109], v[110:111] neg_lo:[0,1] neg_hi:[0,1]
	s_waitcnt lgkmcnt(0)
	v_pk_fma_f32 v[32:33], v[0:1], 0.5, v[18:19] op_sel_hi:[1,0,1] neg_lo:[1,0,0] neg_hi:[1,0,0]
	ds_read2_b64 v[0:3], v7 offset0:62 offset1:179
	v_pk_mul_f32 v[34:35], v[34:35], s[0:1] op_sel_hi:[1,0]
	v_add_u32_e32 v6, 0x2400, v128
	v_pk_add_f32 v[38:39], v[32:33], v[34:35] op_sel:[0,1] op_sel_hi:[1,0]
	v_pk_add_f32 v[112:113], v[32:33], v[34:35] op_sel:[0,1] op_sel_hi:[1,0] neg_lo:[0,1] neg_hi:[0,1]
	v_accvgpr_read_b32 v32, a58
	s_waitcnt lgkmcnt(0)
	v_pk_mul_f32 v[28:29], v[28:29], v[2:3]
	v_accvgpr_read_b32 v33, a59
	v_pk_fma_f32 v[114:115], v[32:33], v[2:3], v[28:29] op_sel:[0,0,1] op_sel_hi:[1,1,0]
	v_pk_fma_f32 v[2:3], v[32:33], v[2:3], v[28:29] op_sel:[0,0,1] op_sel_hi:[1,1,0] neg_lo:[0,0,1] neg_hi:[0,0,1]
	ds_read2_b64 v[32:35], v6 offset0:18 offset1:135
	v_mov_b32_e32 v115, v3
	v_pk_mul_f32 v[2:3], v[30:31], v[36:37]
	v_pk_mul_f32 v[24:25], v[24:25], v[0:1]
	v_pk_fma_f32 v[116:117], v[212:213], v[36:37], v[2:3] op_sel:[0,0,1] op_sel_hi:[1,1,0]
	v_pk_fma_f32 v[2:3], v[212:213], v[36:37], v[2:3] op_sel:[0,0,1] op_sel_hi:[1,1,0] neg_lo:[0,0,1] neg_hi:[0,0,1]
	v_pk_fma_f32 v[118:119], v[214:215], v[0:1], v[24:25] op_sel:[0,0,1] op_sel_hi:[1,1,0]
	v_mov_b32_e32 v117, v3
	v_pk_add_f32 v[2:3], v[114:115], v[116:117]
	v_pk_add_f32 v[28:29], v[114:115], v[116:117] neg_lo:[0,1] neg_hi:[0,1]
	v_pk_fma_f32 v[2:3], v[2:3], 0.5, v[16:17] op_sel_hi:[1,0,1] neg_lo:[1,0,0] neg_hi:[1,0,0]
	v_pk_mul_f32 v[28:29], v[28:29], s[0:1] op_sel_hi:[1,0]
	v_pk_fma_f32 v[0:1], v[214:215], v[0:1], v[24:25] op_sel:[0,0,1] op_sel_hi:[1,1,0] neg_lo:[0,0,1] neg_hi:[0,0,1]
	v_pk_add_f32 v[36:37], v[2:3], v[28:29] op_sel:[0,1] op_sel_hi:[1,0]
	v_pk_add_f32 v[2:3], v[2:3], v[28:29] op_sel:[0,1] op_sel_hi:[1,0] neg_lo:[0,1] neg_hi:[0,1]
	ds_read2_b64 v[28:31], v128 offset1:117
	v_pk_mul_f32 v[20:21], v[20:21], v[14:15]
	v_mov_b32_e32 v119, v1
	s_waitcnt lgkmcnt(1)
	v_pk_mul_f32 v[0:1], v[26:27], v[34:35]
	v_pk_fma_f32 v[26:27], v[218:219], v[14:15], v[20:21] op_sel:[0,0,1] op_sel_hi:[1,1,0]
	v_pk_fma_f32 v[14:15], v[218:219], v[14:15], v[20:21] op_sel:[0,0,1] op_sel_hi:[1,1,0] neg_lo:[0,0,1] neg_hi:[0,0,1]
	v_pk_fma_f32 v[24:25], v[216:217], v[34:35], v[0:1] op_sel:[0,0,1] op_sel_hi:[1,1,0]
	v_mov_b32_e32 v27, v15
	v_pk_mul_f32 v[14:15], v[22:23], v[32:33]
	v_pk_fma_f32 v[0:1], v[216:217], v[34:35], v[0:1] op_sel:[0,0,1] op_sel_hi:[1,1,0] neg_lo:[0,0,1] neg_hi:[0,0,1]
	v_pk_fma_f32 v[20:21], v[220:221], v[32:33], v[14:15] op_sel:[0,0,1] op_sel_hi:[1,1,0]
	v_pk_fma_f32 v[14:15], v[220:221], v[32:33], v[14:15] op_sel:[0,0,1] op_sel_hi:[1,1,0] neg_lo:[0,0,1] neg_hi:[0,0,1]
	v_mov_b32_e32 v25, v1
	v_mov_b32_e32 v21, v15
	s_waitcnt lgkmcnt(0)
	v_pk_add_f32 v[14:15], v[28:29], v[26:27]
	v_pk_add_f32 v[22:23], v[26:27], v[20:21]
	;; [unrolled: 1-line block ×3, first 2 shown]
	v_pk_add_f32 v[20:21], v[26:27], v[20:21] neg_lo:[0,1] neg_hi:[0,1]
	v_pk_fma_f32 v[22:23], v[22:23], 0.5, v[28:29] op_sel_hi:[1,0,1] neg_lo:[1,0,0] neg_hi:[1,0,0]
	v_pk_mul_f32 v[20:21], v[20:21], s[0:1] op_sel_hi:[1,0]
	v_accvgpr_read_b32 v4, a23
	v_pk_add_f32 v[26:27], v[22:23], v[20:21] op_sel:[0,1] op_sel_hi:[1,0] neg_lo:[0,1] neg_hi:[0,1]
	v_pk_add_f32 v[20:21], v[22:23], v[20:21] op_sel:[0,1] op_sel_hi:[1,0]
	v_mov_b32_e32 v22, v26
	v_mov_b32_e32 v23, v21
	;; [unrolled: 1-line block ×3, first 2 shown]
	s_barrier
	ds_write2_b64 v4, v[14:15], v[22:23] offset1:13
	ds_write_b64 v4, v[20:21] offset:208
	v_pk_add_f32 v[14:15], v[118:119], v[24:25]
	v_pk_add_f32 v[20:21], v[118:119], v[24:25] neg_lo:[0,1] neg_hi:[0,1]
	v_pk_fma_f32 v[14:15], v[14:15], 0.5, v[30:31] op_sel_hi:[1,0,1] neg_lo:[1,0,0] neg_hi:[1,0,0]
	v_pk_mul_f32 v[20:21], v[20:21], s[0:1] op_sel_hi:[1,0]
	v_pk_add_f32 v[0:1], v[30:31], v[118:119]
	v_pk_add_f32 v[22:23], v[14:15], v[20:21] op_sel:[0,1] op_sel_hi:[1,0] neg_lo:[0,1] neg_hi:[0,1]
	v_pk_add_f32 v[14:15], v[14:15], v[20:21] op_sel:[0,1] op_sel_hi:[1,0]
	v_pk_add_f32 v[0:1], v[0:1], v[24:25]
	v_mov_b32_e32 v20, v22
	v_mov_b32_e32 v21, v15
	v_accvgpr_read_b32 v4, a13
	ds_write2_b64 v4, v[0:1], v[20:21] offset1:13
	v_mov_b32_e32 v15, v23
	v_pk_add_f32 v[0:1], v[16:17], v[114:115]
	ds_write_b64 v4, v[14:15] offset:208
	v_pk_add_f32 v[0:1], v[0:1], v[116:117]
	v_mov_b32_e32 v14, v2
	v_mov_b32_e32 v15, v37
	ds_write2_b64 v173, v[0:1], v[14:15] offset1:13
	v_pk_add_f32 v[0:1], v[18:19], v[108:109]
	v_mov_b32_e32 v37, v3
	v_pk_add_f32 v[0:1], v[0:1], v[110:111]
	v_mov_b32_e32 v2, v112
	v_mov_b32_e32 v3, v39
	ds_write_b64 v173, v[36:37] offset:208
	ds_write2_b64 v172, v[0:1], v[2:3] offset1:13
	v_pk_add_f32 v[0:1], v[12:13], v[100:101]
	v_mov_b32_e32 v39, v113
	v_pk_add_f32 v[0:1], v[0:1], v[102:103]
	v_mov_b32_e32 v2, v106
	v_mov_b32_e32 v3, v105
	;; [unrolled: 1-line block ×3, first 2 shown]
	ds_write_b64 v172, v[38:39] offset:208
	ds_write2_b64 v167, v[0:1], v[2:3] offset1:13
	ds_write_b64 v167, v[104:105] offset:208
	s_waitcnt lgkmcnt(0)
	s_barrier
	ds_read2_b64 v[12:15], v5 offset0:40 offset1:157
	ds_read2_b64 v[16:19], v8 offset0:84 offset1:201
	ds_read_b64 v[2:3], v128 offset:13104
	v_accvgpr_read_b32 v4, a52
	v_mov_b32_e32 v0, s2
	v_mov_b32_e32 v1, s3
	s_waitcnt lgkmcnt(2)
	v_pk_mul_f32 v[20:21], v[60:61], v[14:15]
	v_accvgpr_read_b32 v11, a55
	v_pk_fma_f32 v[32:33], v[208:209], v[14:15], v[20:21] op_sel:[0,0,1] op_sel_hi:[1,1,0]
	v_pk_fma_f32 v[14:15], v[208:209], v[14:15], v[20:21] op_sel:[0,0,1] op_sel_hi:[1,1,0] neg_lo:[0,0,1] neg_hi:[0,0,1]
	ds_read2_b64 v[20:23], v10 offset0:106 offset1:223
	ds_read2_b64 v[24:27], v9 offset0:124 offset1:241
	v_mov_b32_e32 v33, v15
	s_waitcnt lgkmcnt(2)
	v_pk_mul_f32 v[14:15], v[62:63], v[2:3]
	s_nop 0
	v_pk_fma_f32 v[34:35], v[210:211], v[2:3], v[14:15] op_sel:[0,0,1] op_sel_hi:[1,1,0]
	v_pk_fma_f32 v[2:3], v[210:211], v[2:3], v[14:15] op_sel:[0,0,1] op_sel_hi:[1,1,0] neg_lo:[0,0,1] neg_hi:[0,0,1]
	s_nop 0
	v_mov_b32_e32 v35, v3
	v_pk_add_f32 v[2:3], v[32:33], v[34:35]
	v_pk_add_f32 v[14:15], v[32:33], v[34:35] neg_lo:[0,1] neg_hi:[0,1]
	v_pk_fma_f32 v[2:3], v[2:3], 0.5, v[16:17] op_sel_hi:[1,0,1] neg_lo:[1,0,0] neg_hi:[1,0,0]
	v_pk_mul_f32 v[14:15], v[14:15], s[0:1] op_sel_hi:[1,0]
	s_nop 0
	v_pk_add_f32 v[36:37], v[2:3], v[14:15] op_sel:[0,1] op_sel_hi:[1,0]
	v_pk_add_f32 v[2:3], v[2:3], v[14:15] op_sel:[0,1] op_sel_hi:[1,0] neg_lo:[0,1] neg_hi:[0,1]
	v_pk_mul_f32 v[14:15], v[52:53], v[12:13]
	s_nop 0
	v_pk_fma_f32 v[38:39], v[204:205], v[12:13], v[14:15] op_sel:[0,0,1] op_sel_hi:[1,1,0]
	v_pk_fma_f32 v[12:13], v[204:205], v[12:13], v[14:15] op_sel:[0,0,1] op_sel_hi:[1,1,0] neg_lo:[0,0,1] neg_hi:[0,0,1]
	s_nop 0
	v_mov_b32_e32 v39, v13
	s_waitcnt lgkmcnt(0)
	v_pk_mul_f32 v[12:13], v[54:55], v[26:27]
	s_nop 0
	v_pk_fma_f32 v[52:53], v[206:207], v[26:27], v[12:13] op_sel:[0,0,1] op_sel_hi:[1,1,0]
	v_pk_fma_f32 v[12:13], v[206:207], v[26:27], v[12:13] op_sel:[0,0,1] op_sel_hi:[1,1,0] neg_lo:[0,0,1] neg_hi:[0,0,1]
	s_nop 0
	v_mov_b32_e32 v53, v13
	v_pk_add_f32 v[12:13], v[38:39], v[52:53]
	v_pk_add_f32 v[28:29], v[38:39], v[52:53] neg_lo:[0,1] neg_hi:[0,1]
	v_pk_fma_f32 v[26:27], v[12:13], 0.5, v[22:23] op_sel_hi:[1,0,1] neg_lo:[1,0,0] neg_hi:[1,0,0]
	ds_read2_b64 v[12:15], v7 offset0:62 offset1:179
	v_pk_mul_f32 v[28:29], v[28:29], s[0:1] op_sel_hi:[1,0]
	s_waitcnt lgkmcnt(0)
	v_pk_mul_f32 v[44:45], v[44:45], v[12:13]
	v_pk_add_f32 v[54:55], v[26:27], v[28:29] op_sel:[0,1] op_sel_hi:[1,0]
	v_pk_add_f32 v[60:61], v[26:27], v[28:29] op_sel:[0,1] op_sel_hi:[1,0] neg_lo:[0,1] neg_hi:[0,1]
	v_pk_mul_f32 v[26:27], v[48:49], v[14:15]
	v_pk_fma_f32 v[100:101], v[192:193], v[12:13], v[44:45] op_sel:[0,0,1] op_sel_hi:[1,1,0]
	v_pk_fma_f32 v[48:49], v[196:197], v[14:15], v[26:27] op_sel:[0,0,1] op_sel_hi:[1,1,0]
	v_pk_fma_f32 v[14:15], v[196:197], v[14:15], v[26:27] op_sel:[0,0,1] op_sel_hi:[1,1,0] neg_lo:[0,0,1] neg_hi:[0,0,1]
	v_pk_fma_f32 v[12:13], v[192:193], v[12:13], v[44:45] op_sel:[0,0,1] op_sel_hi:[1,1,0] neg_lo:[0,0,1] neg_hi:[0,0,1]
	v_mov_b32_e32 v49, v15
	v_pk_mul_f32 v[14:15], v[50:51], v[24:25]
	v_mov_b32_e32 v101, v13
	v_pk_fma_f32 v[50:51], v[198:199], v[24:25], v[14:15] op_sel:[0,0,1] op_sel_hi:[1,1,0]
	v_pk_fma_f32 v[14:15], v[198:199], v[24:25], v[14:15] op_sel:[0,0,1] op_sel_hi:[1,1,0] neg_lo:[0,0,1] neg_hi:[0,0,1]
	s_nop 0
	v_mov_b32_e32 v51, v15
	v_pk_add_f32 v[14:15], v[48:49], v[50:51]
	v_pk_add_f32 v[24:25], v[48:49], v[50:51] neg_lo:[0,1] neg_hi:[0,1]
	v_pk_fma_f32 v[14:15], v[14:15], 0.5, v[20:21] op_sel_hi:[1,0,1] neg_lo:[1,0,0] neg_hi:[1,0,0]
	v_pk_mul_f32 v[24:25], v[24:25], s[0:1] op_sel_hi:[1,0]
	s_nop 0
	v_pk_add_f32 v[62:63], v[14:15], v[24:25] op_sel:[0,1] op_sel_hi:[1,0]
	v_pk_add_f32 v[14:15], v[14:15], v[24:25] op_sel:[0,1] op_sel_hi:[1,0] neg_lo:[0,1] neg_hi:[0,1]
	ds_read2_b64 v[24:27], v128 offset1:117
	ds_read2_b64 v[28:31], v6 offset0:18 offset1:135
	s_waitcnt lgkmcnt(0)
	s_barrier
	v_pk_mul_f32 v[12:13], v[46:47], v[30:31]
	s_nop 0
	v_pk_fma_f32 v[44:45], v[194:195], v[30:31], v[12:13] op_sel:[0,0,1] op_sel_hi:[1,1,0]
	v_pk_fma_f32 v[12:13], v[194:195], v[30:31], v[12:13] op_sel:[0,0,1] op_sel_hi:[1,1,0] neg_lo:[0,0,1] neg_hi:[0,0,1]
	v_pk_mul_f32 v[30:31], v[40:41], v[18:19]
	v_mov_b32_e32 v45, v13
	v_pk_fma_f32 v[40:41], v[202:203], v[18:19], v[30:31] op_sel:[0,0,1] op_sel_hi:[1,1,0]
	v_pk_fma_f32 v[18:19], v[202:203], v[18:19], v[30:31] op_sel:[0,0,1] op_sel_hi:[1,1,0] neg_lo:[0,0,1] neg_hi:[0,0,1]
	v_pk_add_f32 v[12:13], v[26:27], v[100:101]
	v_mov_b32_e32 v41, v19
	v_pk_mul_f32 v[18:19], v[42:43], v[28:29]
	v_pk_add_f32 v[12:13], v[12:13], v[44:45]
	v_pk_fma_f32 v[30:31], v[200:201], v[28:29], v[18:19] op_sel:[0,0,1] op_sel_hi:[1,1,0]
	v_pk_fma_f32 v[18:19], v[200:201], v[28:29], v[18:19] op_sel:[0,0,1] op_sel_hi:[1,1,0] neg_lo:[0,0,1] neg_hi:[0,0,1]
	s_nop 0
	v_mov_b32_e32 v31, v19
	v_pk_add_f32 v[28:29], v[40:41], v[30:31]
	v_pk_add_f32 v[18:19], v[24:25], v[40:41]
	v_pk_fma_f32 v[24:25], v[28:29], 0.5, v[24:25] op_sel_hi:[1,0,1] neg_lo:[1,0,0] neg_hi:[1,0,0]
	v_pk_add_f32 v[28:29], v[40:41], v[30:31] neg_lo:[0,1] neg_hi:[0,1]
	v_pk_add_f32 v[18:19], v[18:19], v[30:31]
	v_pk_mul_f32 v[28:29], v[28:29], s[0:1] op_sel_hi:[1,0]
	s_nop 0
	v_pk_add_f32 v[30:31], v[24:25], v[28:29] op_sel:[0,1] op_sel_hi:[1,0] neg_lo:[0,1] neg_hi:[0,1]
	v_pk_add_f32 v[24:25], v[24:25], v[28:29] op_sel:[0,1] op_sel_hi:[1,0]
	v_mov_b32_e32 v28, v30
	v_mov_b32_e32 v29, v25
	;; [unrolled: 1-line block ×3, first 2 shown]
	ds_write2_b64 v4, v[18:19], v[28:29] offset1:39
	ds_write_b64 v4, v[24:25] offset:624
	v_pk_add_f32 v[18:19], v[100:101], v[44:45]
	v_pk_add_f32 v[24:25], v[100:101], v[44:45] neg_lo:[0,1] neg_hi:[0,1]
	v_pk_fma_f32 v[18:19], v[18:19], 0.5, v[26:27] op_sel_hi:[1,0,1] neg_lo:[1,0,0] neg_hi:[1,0,0]
	v_pk_mul_f32 v[24:25], v[24:25], s[0:1] op_sel_hi:[1,0]
	v_accvgpr_read_b32 v4, a51
	v_pk_add_f32 v[26:27], v[18:19], v[24:25] op_sel:[0,1] op_sel_hi:[1,0] neg_lo:[0,1] neg_hi:[0,1]
	v_pk_add_f32 v[18:19], v[18:19], v[24:25] op_sel:[0,1] op_sel_hi:[1,0]
	v_mov_b32_e32 v24, v26
	v_mov_b32_e32 v25, v19
	ds_write2_b64 v4, v[12:13], v[24:25] offset1:39
	v_mov_b32_e32 v19, v27
	v_pk_add_f32 v[12:13], v[20:21], v[48:49]
	ds_write_b64 v4, v[18:19] offset:624
	v_pk_add_f32 v[12:13], v[12:13], v[50:51]
	v_mov_b32_e32 v18, v14
	v_mov_b32_e32 v19, v63
	v_accvgpr_read_b32 v4, a50
	ds_write2_b64 v4, v[12:13], v[18:19] offset1:39
	v_mov_b32_e32 v63, v15
	v_pk_add_f32 v[12:13], v[22:23], v[38:39]
	ds_write_b64 v4, v[62:63] offset:624
	v_pk_add_f32 v[12:13], v[12:13], v[52:53]
	v_mov_b32_e32 v14, v60
	v_mov_b32_e32 v15, v55
	v_accvgpr_read_b32 v4, a49
	ds_write2_b64 v4, v[12:13], v[14:15] offset1:39
	v_pk_add_f32 v[12:13], v[16:17], v[32:33]
	v_mov_b32_e32 v55, v61
	v_pk_add_f32 v[12:13], v[12:13], v[34:35]
	v_mov_b32_e32 v14, v2
	v_mov_b32_e32 v15, v37
	v_accvgpr_read_b32 v2, a48
	v_mov_b32_e32 v37, v3
	ds_write_b64 v4, v[54:55] offset:624
	ds_write2_b64 v2, v[12:13], v[14:15] offset1:39
	ds_write_b64 v2, v[36:37] offset:624
	s_waitcnt lgkmcnt(0)
	s_barrier
	ds_read2_b64 v[12:15], v8 offset0:84 offset1:201
	ds_read2_b64 v[16:19], v128 offset1:117
	ds_read2_b64 v[20:23], v6 offset0:18 offset1:135
	v_accvgpr_read_b32 v62, a22
	v_mad_u64_u32 v[2:3], s[2:3], s6, v62, 0
	s_waitcnt lgkmcnt(2)
	v_pk_mul_f32 v[24:25], v[56:57], v[14:15]
	v_mov_b32_e32 v4, v3
	v_pk_fma_f32 v[26:27], v[122:123], v[14:15], v[24:25] op_sel:[0,0,1] op_sel_hi:[1,1,0]
	v_pk_fma_f32 v[14:15], v[122:123], v[14:15], v[24:25] op_sel:[0,0,1] op_sel_hi:[1,1,0] neg_lo:[0,0,1] neg_hi:[0,0,1]
	v_add_u32_e32 v3, 0x1400, v11
	v_mov_b32_e32 v27, v15
	s_waitcnt lgkmcnt(0)
	v_pk_mul_f32 v[14:15], v[58:59], v[20:21]
	s_mov_b32 s2, 0x3f737871
	v_pk_fma_f32 v[24:25], v[124:125], v[20:21], v[14:15] op_sel:[0,0,1] op_sel_hi:[1,1,0]
	v_pk_fma_f32 v[14:15], v[124:125], v[20:21], v[14:15] op_sel:[0,0,1] op_sel_hi:[1,1,0] neg_lo:[0,0,1] neg_hi:[0,0,1]
	s_mov_b32 s6, 0x3f167918
	v_mov_b32_e32 v25, v15
	v_pk_add_f32 v[14:15], v[16:17], v[26:27]
	s_nop 0
	v_pk_add_f32 v[20:21], v[14:15], v[24:25]
	v_pk_add_f32 v[14:15], v[26:27], v[24:25]
	v_pk_add_f32 v[24:25], v[26:27], v[24:25] neg_lo:[0,1] neg_hi:[0,1]
	v_pk_fma_f32 v[28:29], v[14:15], 0.5, v[16:17] op_sel_hi:[1,0,1] neg_lo:[1,0,0] neg_hi:[1,0,0]
	ds_read2_b64 v[14:17], v5 offset0:40 offset1:157
	v_pk_mul_f32 v[24:25], v[24:25], s[0:1] op_sel_hi:[1,0]
	s_waitcnt lgkmcnt(0)
	v_pk_mul_f32 v[26:27], v[72:73], v[16:17]
	v_pk_add_f32 v[32:33], v[28:29], v[24:25] op_sel:[0,1] op_sel_hi:[1,0] neg_lo:[0,1] neg_hi:[0,1]
	v_pk_add_f32 v[34:35], v[28:29], v[24:25] op_sel:[0,1] op_sel_hi:[1,0]
	ds_read_b64 v[24:25], v128 offset:13104
	v_pk_fma_f32 v[36:37], v[188:189], v[16:17], v[26:27] op_sel:[0,0,1] op_sel_hi:[1,1,0]
	v_pk_fma_f32 v[16:17], v[188:189], v[16:17], v[26:27] op_sel:[0,0,1] op_sel_hi:[1,1,0] neg_lo:[0,0,1] neg_hi:[0,0,1]
	s_nop 0
	v_mov_b32_e32 v37, v17
	s_waitcnt lgkmcnt(0)
	v_pk_mul_f32 v[16:17], v[74:75], v[24:25]
	s_nop 0
	v_pk_fma_f32 v[38:39], v[190:191], v[24:25], v[16:17] op_sel:[0,0,1] op_sel_hi:[1,1,0]
	v_pk_fma_f32 v[16:17], v[190:191], v[24:25], v[16:17] op_sel:[0,0,1] op_sel_hi:[1,1,0] neg_lo:[0,0,1] neg_hi:[0,0,1]
	s_nop 0
	v_mov_b32_e32 v39, v17
	v_pk_add_f32 v[16:17], v[36:37], v[38:39]
	v_pk_add_f32 v[24:25], v[36:37], v[38:39] neg_lo:[0,1] neg_hi:[0,1]
	v_pk_fma_f32 v[16:17], v[16:17], 0.5, v[12:13] op_sel_hi:[1,0,1] neg_lo:[1,0,0] neg_hi:[1,0,0]
	v_pk_mul_f32 v[24:25], v[24:25], s[0:1] op_sel_hi:[1,0]
	v_pk_add_f32 v[12:13], v[12:13], v[36:37]
	v_pk_add_f32 v[40:41], v[16:17], v[24:25] op_sel:[0,1] op_sel_hi:[1,0]
	v_pk_add_f32 v[42:43], v[16:17], v[24:25] op_sel:[0,1] op_sel_hi:[1,0] neg_lo:[0,1] neg_hi:[0,1]
	ds_read2_b64 v[24:27], v10 offset0:106 offset1:223
	ds_read2_b64 v[28:31], v9 offset0:124 offset1:241
	v_pk_mul_f32 v[16:17], v[68:69], v[14:15]
	v_pk_add_f32 v[12:13], v[12:13], v[38:39]
	v_pk_fma_f32 v[44:45], v[184:185], v[14:15], v[16:17] op_sel:[0,0,1] op_sel_hi:[1,1,0]
	v_pk_fma_f32 v[14:15], v[184:185], v[14:15], v[16:17] op_sel:[0,0,1] op_sel_hi:[1,1,0] neg_lo:[0,0,1] neg_hi:[0,0,1]
	s_nop 0
	v_mov_b32_e32 v45, v15
	s_waitcnt lgkmcnt(0)
	v_pk_mul_f32 v[14:15], v[70:71], v[30:31]
	s_nop 0
	v_pk_fma_f32 v[46:47], v[186:187], v[30:31], v[14:15] op_sel:[0,0,1] op_sel_hi:[1,1,0]
	v_pk_fma_f32 v[14:15], v[186:187], v[30:31], v[14:15] op_sel:[0,0,1] op_sel_hi:[1,1,0] neg_lo:[0,0,1] neg_hi:[0,0,1]
	s_nop 0
	v_mov_b32_e32 v47, v15
	v_pk_add_f32 v[14:15], v[44:45], v[46:47]
	v_pk_add_f32 v[48:49], v[44:45], v[46:47] neg_lo:[0,1] neg_hi:[0,1]
	v_pk_fma_f32 v[30:31], v[14:15], 0.5, v[26:27] op_sel_hi:[1,0,1] neg_lo:[1,0,0] neg_hi:[1,0,0]
	ds_read2_b64 v[14:17], v7 offset0:62 offset1:179
	v_pk_mul_f32 v[48:49], v[48:49], s[0:1] op_sel_hi:[1,0]
	s_waitcnt lgkmcnt(0)
	v_pk_add_f32 v[50:51], v[30:31], v[48:49] op_sel:[0,1] op_sel_hi:[1,0]
	v_pk_add_f32 v[30:31], v[30:31], v[48:49] op_sel:[0,1] op_sel_hi:[1,0] neg_lo:[0,1] neg_hi:[0,1]
	v_pk_mul_f32 v[48:49], v[64:65], v[16:17]
	s_barrier
	v_pk_fma_f32 v[52:53], v[180:181], v[16:17], v[48:49] op_sel:[0,0,1] op_sel_hi:[1,1,0]
	v_pk_fma_f32 v[16:17], v[180:181], v[16:17], v[48:49] op_sel:[0,0,1] op_sel_hi:[1,1,0] neg_lo:[0,0,1] neg_hi:[0,0,1]
	s_nop 0
	v_mov_b32_e32 v53, v17
	v_pk_mul_f32 v[16:17], v[66:67], v[28:29]
	s_nop 0
	v_pk_fma_f32 v[48:49], v[182:183], v[28:29], v[16:17] op_sel:[0,0,1] op_sel_hi:[1,1,0]
	v_pk_fma_f32 v[16:17], v[182:183], v[28:29], v[16:17] op_sel:[0,0,1] op_sel_hi:[1,1,0] neg_lo:[0,0,1] neg_hi:[0,0,1]
	s_nop 0
	v_mov_b32_e32 v49, v17
	v_pk_add_f32 v[16:17], v[52:53], v[48:49]
	v_pk_add_f32 v[28:29], v[52:53], v[48:49] neg_lo:[0,1] neg_hi:[0,1]
	v_pk_fma_f32 v[16:17], v[16:17], 0.5, v[24:25] op_sel_hi:[1,0,1] neg_lo:[1,0,0] neg_hi:[1,0,0]
	v_pk_mul_f32 v[28:29], v[28:29], s[0:1] op_sel_hi:[1,0]
	s_nop 0
	v_pk_add_f32 v[54:55], v[16:17], v[28:29] op_sel:[0,1] op_sel_hi:[1,0]
	v_pk_add_f32 v[16:17], v[16:17], v[28:29] op_sel:[0,1] op_sel_hi:[1,0] neg_lo:[0,1] neg_hi:[0,1]
	v_pk_mul_f32 v[28:29], v[56:57], v[14:15]
	s_nop 0
	v_pk_fma_f32 v[56:57], v[122:123], v[14:15], v[28:29] op_sel:[0,0,1] op_sel_hi:[1,1,0]
	v_pk_fma_f32 v[14:15], v[122:123], v[14:15], v[28:29] op_sel:[0,0,1] op_sel_hi:[1,1,0] neg_lo:[0,0,1] neg_hi:[0,0,1]
	s_nop 0
	v_mov_b32_e32 v57, v15
	v_pk_mul_f32 v[14:15], v[58:59], v[22:23]
	s_nop 0
	v_pk_fma_f32 v[28:29], v[124:125], v[22:23], v[14:15] op_sel:[0,0,1] op_sel_hi:[1,1,0]
	v_pk_fma_f32 v[14:15], v[124:125], v[22:23], v[14:15] op_sel:[0,0,1] op_sel_hi:[1,1,0] neg_lo:[0,0,1] neg_hi:[0,0,1]
	s_nop 0
	v_mov_b32_e32 v29, v15
	v_pk_add_f32 v[14:15], v[56:57], v[28:29]
	v_pk_add_f32 v[22:23], v[56:57], v[28:29] neg_lo:[0,1] neg_hi:[0,1]
	v_pk_fma_f32 v[14:15], v[14:15], 0.5, v[18:19] op_sel_hi:[1,0,1] neg_lo:[1,0,0] neg_hi:[1,0,0]
	v_pk_mul_f32 v[22:23], v[22:23], s[0:1] op_sel_hi:[1,0]
	v_pk_add_f32 v[18:19], v[18:19], v[56:57]
	v_pk_add_f32 v[58:59], v[14:15], v[22:23] op_sel:[0,1] op_sel_hi:[1,0]
	v_pk_add_f32 v[14:15], v[14:15], v[22:23] op_sel:[0,1] op_sel_hi:[1,0] neg_lo:[0,1] neg_hi:[0,1]
	v_mov_b32_e32 v23, v35
	v_mov_b32_e32 v35, v33
	v_pk_add_f32 v[18:19], v[18:19], v[28:29]
	ds_write2_b64 v10, v[34:35], v[18:19] offset0:106 offset1:223
	v_mov_b32_e32 v18, v14
	v_mov_b32_e32 v19, v59
	;; [unrolled: 1-line block ×3, first 2 shown]
	v_pk_add_f32 v[14:15], v[24:25], v[52:53]
	v_mov_b32_e32 v22, v32
	ds_write2_b64 v8, v[18:19], v[58:59] offset0:84 offset1:201
	v_pk_add_f32 v[14:15], v[14:15], v[48:49]
	v_mov_b32_e32 v18, v16
	v_mov_b32_e32 v19, v55
	;; [unrolled: 1-line block ×3, first 2 shown]
	ds_write2_b64 v128, v[20:21], v[22:23] offset1:117
	ds_write2_b64 v3, v[14:15], v[18:19] offset0:62 offset1:179
	ds_write_b64 v11, v[54:55] offset:7488
	v_pk_add_f32 v[14:15], v[26:27], v[44:45]
	v_mov_b32_e32 v17, v51
	v_accvgpr_read_b32 v11, a54
	v_mov_b32_e32 v51, v31
	v_pk_add_f32 v[14:15], v[14:15], v[46:47]
	v_mov_b32_e32 v16, v30
	v_add_u32_e32 v3, 0x2000, v11
	ds_write_b64 v11, v[50:51] offset:10296
	v_accvgpr_read_b32 v11, a53
	ds_write2_b64 v3, v[14:15], v[16:17] offset0:29 offset1:146
	v_mov_b32_e32 v14, v42
	v_mov_b32_e32 v15, v41
	v_add_u32_e32 v3, 0x2800, v11
	v_mov_b32_e32 v41, v43
	ds_write2_b64 v3, v[12:13], v[14:15] offset0:124 offset1:241
	ds_write_b64 v11, v[40:41] offset:13104
	s_waitcnt lgkmcnt(0)
	s_barrier
	ds_read2_b64 v[12:15], v10 offset0:106 offset1:223
	ds_read2_b64 v[16:19], v128 offset1:117
	ds_read2_b64 v[20:23], v7 offset0:62 offset1:179
	ds_read2_b64 v[24:27], v5 offset0:40 offset1:157
	;; [unrolled: 1-line block ×3, first 2 shown]
	s_waitcnt lgkmcnt(4)
	v_pk_mul_f32 v[32:33], v[96:97], v[14:15]
	s_mov_b32 s0, 0x3e9e377a
	v_pk_fma_f32 v[36:37], v[126:127], v[14:15], v[32:33] op_sel:[0,0,1] op_sel_hi:[1,1,0]
	v_pk_fma_f32 v[14:15], v[126:127], v[14:15], v[32:33] op_sel:[0,0,1] op_sel_hi:[1,1,0] neg_lo:[0,0,1] neg_hi:[0,0,1]
	ds_read2_b64 v[32:35], v6 offset0:18 offset1:135
	v_mov_b32_e32 v37, v15
	s_waitcnt lgkmcnt(3)
	v_pk_mul_f32 v[14:15], v[98:99], v[20:21]
	s_nop 0
	v_pk_fma_f32 v[38:39], v[178:179], v[20:21], v[14:15] op_sel:[0,0,1] op_sel_hi:[1,1,0]
	v_pk_fma_f32 v[14:15], v[178:179], v[20:21], v[14:15] op_sel:[0,0,1] op_sel_hi:[1,1,0] neg_lo:[0,0,1] neg_hi:[0,0,1]
	s_nop 0
	v_mov_b32_e32 v39, v15
	s_waitcnt lgkmcnt(2)
	v_pk_mul_f32 v[14:15], v[92:93], v[26:27]
	v_pk_add_f32 v[58:59], v[36:37], v[38:39] neg_lo:[0,1] neg_hi:[0,1]
	v_pk_fma_f32 v[20:21], v[176:177], v[26:27], v[14:15] op_sel:[0,0,1] op_sel_hi:[1,1,0]
	v_pk_fma_f32 v[14:15], v[176:177], v[26:27], v[14:15] op_sel:[0,0,1] op_sel_hi:[1,1,0] neg_lo:[0,0,1] neg_hi:[0,0,1]
	s_nop 0
	v_mov_b32_e32 v21, v15
	s_waitcnt lgkmcnt(1)
	v_pk_mul_f32 v[14:15], v[94:95], v[28:29]
	v_pk_add_f32 v[54:55], v[38:39], v[20:21] neg_lo:[0,1] neg_hi:[0,1]
	v_pk_fma_f32 v[40:41], v[174:175], v[28:29], v[14:15] op_sel:[0,0,1] op_sel_hi:[1,1,0]
	v_pk_fma_f32 v[14:15], v[174:175], v[28:29], v[14:15] op_sel:[0,0,1] op_sel_hi:[1,1,0] neg_lo:[0,0,1] neg_hi:[0,0,1]
	ds_read2_b64 v[26:29], v8 offset0:84 offset1:201
	v_mov_b32_e32 v41, v15
	v_pk_add_f32 v[50:51], v[36:37], v[40:41] neg_lo:[0,1] neg_hi:[0,1]
	v_pk_add_f32 v[60:61], v[40:41], v[20:21] neg_lo:[0,1] neg_hi:[0,1]
	v_pk_mul_f32 v[52:53], v[50:51], s[2:3] op_sel_hi:[1,0]
	s_waitcnt lgkmcnt(0)
	v_pk_mul_f32 v[42:43], v[88:89], v[26:27]
	v_pk_mul_f32 v[46:47], v[80:81], v[28:29]
	v_pk_fma_f32 v[44:45], v[130:131], v[26:27], v[42:43] op_sel:[0,0,1] op_sel_hi:[1,1,0]
	v_pk_fma_f32 v[26:27], v[130:131], v[26:27], v[42:43] op_sel:[0,0,1] op_sel_hi:[1,1,0] neg_lo:[0,0,1] neg_hi:[0,0,1]
	v_pk_fma_f32 v[48:49], v[164:165], v[28:29], v[46:47] op_sel:[0,0,1] op_sel_hi:[1,1,0]
	v_mov_b32_e32 v45, v27
	v_pk_mul_f32 v[26:27], v[90:91], v[22:23]
	v_pk_fma_f32 v[28:29], v[164:165], v[28:29], v[46:47] op_sel:[0,0,1] op_sel_hi:[1,1,0] neg_lo:[0,0,1] neg_hi:[0,0,1]
	v_pk_fma_f32 v[42:43], v[142:143], v[22:23], v[26:27] op_sel:[0,0,1] op_sel_hi:[1,1,0]
	v_pk_fma_f32 v[22:23], v[142:143], v[22:23], v[26:27] op_sel:[0,0,1] op_sel_hi:[1,1,0] neg_lo:[0,0,1] neg_hi:[0,0,1]
	v_mov_b32_e32 v49, v29
	v_mov_b32_e32 v43, v23
	v_pk_mul_f32 v[22:23], v[84:85], v[32:33]
	v_pk_mul_f32 v[28:29], v[82:83], v[24:25]
	v_pk_fma_f32 v[26:27], v[152:153], v[32:33], v[22:23] op_sel:[0,0,1] op_sel_hi:[1,1,0]
	v_pk_fma_f32 v[22:23], v[152:153], v[32:33], v[22:23] op_sel:[0,0,1] op_sel_hi:[1,1,0] neg_lo:[0,0,1] neg_hi:[0,0,1]
	v_pk_fma_f32 v[46:47], v[234:235], v[24:25], v[28:29] op_sel:[0,0,1] op_sel_hi:[1,1,0]
	v_mov_b32_e32 v27, v23
	v_pk_mul_f32 v[22:23], v[86:87], v[30:31]
	v_pk_fma_f32 v[24:25], v[234:235], v[24:25], v[28:29] op_sel:[0,0,1] op_sel_hi:[1,1,0] neg_lo:[0,0,1] neg_hi:[0,0,1]
	v_pk_fma_f32 v[32:33], v[230:231], v[30:31], v[22:23] op_sel:[0,0,1] op_sel_hi:[1,1,0]
	v_pk_fma_f32 v[22:23], v[230:231], v[30:31], v[22:23] op_sel:[0,0,1] op_sel_hi:[1,1,0] neg_lo:[0,0,1] neg_hi:[0,0,1]
	ds_read_b64 v[30:31], v128 offset:13104
	v_mov_b32_e32 v47, v25
	v_pk_mul_f32 v[24:25], v[76:77], v[34:35]
	v_pk_add_f32 v[14:15], v[16:17], v[36:37]
	v_pk_fma_f32 v[28:29], v[238:239], v[34:35], v[24:25] op_sel:[0,0,1] op_sel_hi:[1,1,0]
	v_pk_fma_f32 v[24:25], v[238:239], v[34:35], v[24:25] op_sel:[0,0,1] op_sel_hi:[1,1,0] neg_lo:[0,0,1] neg_hi:[0,0,1]
	v_pk_mul_f32 v[56:57], v[54:55], s[6:7] op_sel_hi:[1,0]
	v_mov_b32_e32 v29, v25
	s_waitcnt lgkmcnt(0)
	v_pk_mul_f32 v[24:25], v[78:79], v[30:31]
	v_pk_add_f32 v[58:59], v[58:59], v[60:61]
	v_pk_fma_f32 v[34:35], v[120:121], v[30:31], v[24:25] op_sel:[0,0,1] op_sel_hi:[1,1,0]
	v_pk_fma_f32 v[24:25], v[120:121], v[30:31], v[24:25] op_sel:[0,0,1] op_sel_hi:[1,1,0] neg_lo:[0,0,1] neg_hi:[0,0,1]
	v_pk_add_f32 v[30:31], v[38:39], v[20:21]
	v_pk_add_f32 v[14:15], v[14:15], v[38:39]
	v_pk_fma_f32 v[30:31], v[30:31], 0.5, v[16:17] op_sel_hi:[1,0,1] neg_lo:[1,0,0] neg_hi:[1,0,0]
	v_pk_add_f32 v[14:15], v[14:15], v[20:21]
	v_pk_add_f32 v[60:61], v[30:31], v[52:53] op_sel:[0,1] op_sel_hi:[1,0] neg_lo:[0,1] neg_hi:[0,1]
	v_pk_add_f32 v[30:31], v[30:31], v[52:53] op_sel:[0,1] op_sel_hi:[1,0]
	v_pk_add_f32 v[52:53], v[60:61], v[56:57] op_sel:[0,1] op_sel_hi:[1,0] neg_lo:[0,1] neg_hi:[0,1]
	v_pk_add_f32 v[30:31], v[30:31], v[56:57] op_sel:[0,1] op_sel_hi:[1,0]
	v_mov_b32_e32 v56, v52
	v_mov_b32_e32 v57, v31
	;; [unrolled: 1-line block ×3, first 2 shown]
	v_pk_add_f32 v[52:53], v[36:37], v[40:41]
	v_pk_add_f32 v[36:37], v[38:39], v[36:37] neg_lo:[0,1] neg_hi:[0,1]
	v_pk_add_f32 v[20:21], v[20:21], v[40:41] neg_lo:[0,1] neg_hi:[0,1]
	v_mov_b32_e32 v33, v23
	v_pk_add_f32 v[22:23], v[18:19], v[44:45]
	v_pk_fma_f32 v[16:17], v[52:53], 0.5, v[16:17] op_sel_hi:[1,0,1] neg_lo:[1,0,0] neg_hi:[1,0,0]
	v_pk_add_f32 v[20:21], v[36:37], v[20:21]
	v_pk_mul_f32 v[36:37], v[54:55], s[2:3] op_sel_hi:[1,0]
	v_pk_add_f32 v[14:15], v[14:15], v[40:41]
	v_pk_add_f32 v[22:23], v[22:23], v[42:43]
	v_pk_mul_f32 v[38:39], v[50:51], s[6:7] op_sel_hi:[1,0]
	v_pk_add_f32 v[40:41], v[16:17], v[36:37] op_sel:[0,1] op_sel_hi:[1,0]
	v_pk_add_f32 v[16:17], v[16:17], v[36:37] op_sel:[0,1] op_sel_hi:[1,0] neg_lo:[0,1] neg_hi:[0,1]
	v_pk_add_f32 v[22:23], v[22:23], v[26:27]
	v_pk_add_f32 v[16:17], v[16:17], v[38:39] op_sel:[0,1] op_sel_hi:[1,0]
	v_pk_add_f32 v[36:37], v[40:41], v[38:39] op_sel:[0,1] op_sel_hi:[1,0] neg_lo:[0,1] neg_hi:[0,1]
	v_pk_add_f32 v[22:23], v[22:23], v[32:33]
	v_mov_b32_e32 v38, v36
	v_mov_b32_e32 v39, v17
	;; [unrolled: 1-line block ×3, first 2 shown]
	v_pk_fma_f32 v[38:39], v[20:21], s[0:1], v[38:39] op_sel_hi:[1,0,1]
	v_pk_fma_f32 v[16:17], v[20:21], s[0:1], v[16:17] op_sel_hi:[1,0,1]
	ds_write2_b64 v128, v[14:15], v[22:23] offset1:117
	v_pk_add_f32 v[14:15], v[42:43], v[26:27]
	v_pk_add_f32 v[20:21], v[44:45], v[32:33] neg_lo:[0,1] neg_hi:[0,1]
	v_pk_fma_f32 v[14:15], v[14:15], 0.5, v[18:19] op_sel_hi:[1,0,1] neg_lo:[1,0,0] neg_hi:[1,0,0]
	v_pk_mul_f32 v[22:23], v[20:21], s[2:3] op_sel_hi:[1,0]
	v_pk_add_f32 v[36:37], v[42:43], v[26:27] neg_lo:[0,1] neg_hi:[0,1]
	v_pk_add_f32 v[50:51], v[44:45], v[42:43] neg_lo:[0,1] neg_hi:[0,1]
	;; [unrolled: 1-line block ×3, first 2 shown]
	v_pk_mul_f32 v[40:41], v[36:37], s[6:7] op_sel_hi:[1,0]
	v_pk_add_f32 v[50:51], v[50:51], v[52:53]
	v_pk_add_f32 v[52:53], v[14:15], v[22:23] op_sel:[0,1] op_sel_hi:[1,0] neg_lo:[0,1] neg_hi:[0,1]
	v_pk_add_f32 v[14:15], v[14:15], v[22:23] op_sel:[0,1] op_sel_hi:[1,0]
	v_pk_add_f32 v[22:23], v[52:53], v[40:41] op_sel:[0,1] op_sel_hi:[1,0] neg_lo:[0,1] neg_hi:[0,1]
	v_pk_add_f32 v[52:53], v[44:45], v[32:33]
	v_pk_add_f32 v[26:27], v[26:27], v[32:33] neg_lo:[0,1] neg_hi:[0,1]
	v_pk_fma_f32 v[18:19], v[52:53], 0.5, v[18:19] op_sel_hi:[1,0,1] neg_lo:[1,0,0] neg_hi:[1,0,0]
	v_pk_mul_f32 v[32:33], v[36:37], s[2:3] op_sel_hi:[1,0]
	v_pk_mul_f32 v[20:21], v[20:21], s[6:7] op_sel_hi:[1,0]
	v_pk_add_f32 v[36:37], v[18:19], v[32:33] op_sel:[0,1] op_sel_hi:[1,0]
	v_pk_add_f32 v[18:19], v[18:19], v[32:33] op_sel:[0,1] op_sel_hi:[1,0] neg_lo:[0,1] neg_hi:[0,1]
	v_mov_b32_e32 v35, v25
	v_pk_add_f32 v[24:25], v[12:13], v[48:49]
	v_pk_add_f32 v[14:15], v[14:15], v[40:41] op_sel:[0,1] op_sel_hi:[1,0]
	v_pk_add_f32 v[42:43], v[42:43], v[44:45] neg_lo:[0,1] neg_hi:[0,1]
	v_pk_add_f32 v[18:19], v[18:19], v[20:21] op_sel:[0,1] op_sel_hi:[1,0]
	v_pk_add_f32 v[20:21], v[36:37], v[20:21] op_sel:[0,1] op_sel_hi:[1,0] neg_lo:[0,1] neg_hi:[0,1]
	v_pk_add_f32 v[24:25], v[24:25], v[46:47]
	v_mov_b32_e32 v41, v15
	v_pk_add_f32 v[26:27], v[42:43], v[26:27]
	v_mov_b32_e32 v32, v20
	v_mov_b32_e32 v33, v19
	;; [unrolled: 1-line block ×3, first 2 shown]
	v_pk_add_f32 v[24:25], v[24:25], v[28:29]
	v_pk_fma_f32 v[30:31], v[58:59], s[0:1], v[30:31] op_sel_hi:[1,0,1]
	v_pk_fma_f32 v[32:33], v[26:27], s[0:1], v[32:33] op_sel_hi:[1,0,1]
	;; [unrolled: 1-line block ×3, first 2 shown]
	v_pk_add_f32 v[24:25], v[24:25], v[34:35]
	v_pk_fma_f32 v[56:57], v[58:59], s[0:1], v[56:57] op_sel_hi:[1,0,1]
	ds_write2_b64 v7, v[38:39], v[32:33] offset0:62 offset1:179
	v_mov_b32_e32 v19, v21
	ds_write2_b64 v9, v[30:31], v[14:15] offset0:124 offset1:241
	ds_write2_b64 v10, v[24:25], v[56:57] offset0:106 offset1:223
	v_pk_add_f32 v[10:11], v[46:47], v[28:29]
	v_pk_add_f32 v[14:15], v[48:49], v[34:35] neg_lo:[0,1] neg_hi:[0,1]
	v_mov_b32_e32 v40, v22
	v_pk_fma_f32 v[18:19], v[26:27], s[0:1], v[18:19] op_sel_hi:[1,0,1]
	v_pk_fma_f32 v[10:11], v[10:11], 0.5, v[12:13] op_sel_hi:[1,0,1] neg_lo:[1,0,0] neg_hi:[1,0,0]
	v_pk_mul_f32 v[20:21], v[14:15], s[2:3] op_sel_hi:[1,0]
	v_pk_add_f32 v[22:23], v[46:47], v[28:29] neg_lo:[0,1] neg_hi:[0,1]
	v_pk_add_f32 v[26:27], v[48:49], v[46:47] neg_lo:[0,1] neg_hi:[0,1]
	;; [unrolled: 1-line block ×3, first 2 shown]
	v_pk_mul_f32 v[24:25], v[22:23], s[6:7] op_sel_hi:[1,0]
	v_pk_add_f32 v[26:27], v[26:27], v[30:31]
	v_pk_add_f32 v[30:31], v[10:11], v[20:21] op_sel:[0,1] op_sel_hi:[1,0] neg_lo:[0,1] neg_hi:[0,1]
	v_pk_add_f32 v[10:11], v[10:11], v[20:21] op_sel:[0,1] op_sel_hi:[1,0]
	v_pk_add_f32 v[20:21], v[30:31], v[24:25] op_sel:[0,1] op_sel_hi:[1,0] neg_lo:[0,1] neg_hi:[0,1]
	v_pk_add_f32 v[10:11], v[10:11], v[24:25] op_sel:[0,1] op_sel_hi:[1,0]
	v_mov_b32_e32 v24, v20
	v_mov_b32_e32 v25, v11
	v_pk_fma_f32 v[40:41], v[50:51], s[0:1], v[40:41] op_sel_hi:[1,0,1]
	v_pk_fma_f32 v[24:25], v[26:27], s[0:1], v[24:25] op_sel_hi:[1,0,1]
	ds_write2_b64 v8, v[40:41], v[24:25] offset0:84 offset1:201
	v_pk_add_f32 v[24:25], v[48:49], v[34:35]
	v_pk_add_f32 v[28:29], v[28:29], v[34:35] neg_lo:[0,1] neg_hi:[0,1]
	v_pk_fma_f32 v[12:13], v[24:25], 0.5, v[12:13] op_sel_hi:[1,0,1] neg_lo:[1,0,0] neg_hi:[1,0,0]
	v_pk_add_f32 v[24:25], v[46:47], v[48:49] neg_lo:[0,1] neg_hi:[0,1]
	v_pk_mul_f32 v[22:23], v[22:23], s[2:3] op_sel_hi:[1,0]
	v_pk_add_f32 v[24:25], v[24:25], v[28:29]
	v_pk_mul_f32 v[14:15], v[14:15], s[6:7] op_sel_hi:[1,0]
	v_pk_add_f32 v[28:29], v[12:13], v[22:23] op_sel:[0,1] op_sel_hi:[1,0]
	v_pk_add_f32 v[12:13], v[12:13], v[22:23] op_sel:[0,1] op_sel_hi:[1,0] neg_lo:[0,1] neg_hi:[0,1]
	v_mov_b32_e32 v11, v21
	v_pk_add_f32 v[12:13], v[12:13], v[14:15] op_sel:[0,1] op_sel_hi:[1,0]
	v_pk_add_f32 v[14:15], v[28:29], v[14:15] op_sel:[0,1] op_sel_hi:[1,0] neg_lo:[0,1] neg_hi:[0,1]
	v_mov_b32_e32 v23, v13
	v_mov_b32_e32 v22, v14
	;; [unrolled: 1-line block ×3, first 2 shown]
	v_pk_fma_f32 v[22:23], v[24:25], s[0:1], v[22:23] op_sel_hi:[1,0,1]
	v_pk_fma_f32 v[12:13], v[24:25], s[0:1], v[12:13] op_sel_hi:[1,0,1]
	;; [unrolled: 1-line block ×3, first 2 shown]
	ds_write2_b64 v5, v[22:23], v[16:17] offset0:40 offset1:157
	ds_write2_b64 v6, v[18:19], v[12:13] offset0:18 offset1:135
	ds_write_b64 v128, v[10:11] offset:13104
	s_waitcnt lgkmcnt(0)
	s_barrier
	ds_read2_b64 v[10:13], v128 offset1:135
	v_accvgpr_read_b32 v16, a30
	v_accvgpr_read_b32 v17, a31
	v_mad_u64_u32 v[14:15], s[0:1], s7, v62, v[4:5]
	s_waitcnt lgkmcnt(0)
	v_mul_f32_e32 v4, v17, v11
	v_fmac_f32_e32 v4, v16, v10
	v_mov_b32_e32 v3, v14
	v_cvt_f64_f32_e32 v[14:15], v4
	v_mul_f32_e32 v4, v17, v10
	s_mov_b32 s0, 0x68012abd
	v_fma_f32 v4, v16, v11, -v4
	s_mov_b32 s1, 0x3f42abd5
	v_cvt_f64_f32_e32 v[10:11], v4
	v_mul_f64 v[14:15], v[14:15], s[0:1]
	v_mul_f64 v[10:11], v[10:11], s[0:1]
	v_cvt_f32_f64_e32 v14, v[14:15]
	v_cvt_f32_f64_e32 v15, v[10:11]
	v_mad_u64_u32 v[10:11], s[2:3], s4, v166, 0
	v_mov_b32_e32 v4, v11
	v_mad_u64_u32 v[16:17], s[2:3], s5, v166, v[4:5]
	v_lshl_add_u64 v[0:1], v[2:3], 3, v[0:1]
	v_accvgpr_read_b32 v2, a28
	v_mov_b32_e32 v11, v16
	v_accvgpr_read_b32 v3, a29
	v_lshl_add_u64 v[10:11], v[10:11], 3, v[0:1]
	v_mul_f32_e32 v0, v3, v13
	v_fmac_f32_e32 v0, v2, v12
	v_cvt_f64_f32_e32 v[0:1], v0
	v_mul_f64 v[0:1], v[0:1], s[0:1]
	global_store_dwordx2 v[10:11], v[14:15], off
	v_cvt_f32_f64_e32 v14, v[0:1]
	v_mul_f32_e32 v0, v3, v12
	v_fma_f32 v0, v2, v13, -v0
	v_cvt_f64_f32_e32 v[0:1], v0
	v_mul_f64 v[0:1], v[0:1], s[0:1]
	v_cvt_f32_f64_e32 v15, v[0:1]
	s_mul_i32 s2, s5, 0x87
	s_mul_hi_u32 s3, s4, 0x87
	v_add_u32_e32 v0, 0x800, v128
	s_add_i32 s3, s3, s2
	ds_read2_b64 v[0:3], v0 offset0:14 offset1:149
	s_mul_i32 s2, s4, 0x87
	s_lshl_b64 s[2:3], s[2:3], 3
	v_lshl_add_u64 v[10:11], v[10:11], 0, s[2:3]
	global_store_dwordx2 v[10:11], v[14:15], off
	v_accvgpr_read_b32 v14, a26
	v_accvgpr_read_b32 v15, a27
	s_waitcnt lgkmcnt(0)
	v_mul_f32_e32 v4, v15, v1
	v_fmac_f32_e32 v4, v14, v0
	v_mul_f32_e32 v0, v15, v0
	v_fma_f32 v0, v14, v1, -v0
	v_cvt_f64_f32_e32 v[12:13], v4
	v_cvt_f64_f32_e32 v[0:1], v0
	v_accvgpr_read_b32 v14, a24
	v_mul_f64 v[12:13], v[12:13], s[0:1]
	v_mul_f64 v[0:1], v[0:1], s[0:1]
	v_accvgpr_read_b32 v15, a25
	v_cvt_f32_f64_e32 v12, v[12:13]
	v_cvt_f32_f64_e32 v13, v[0:1]
	v_mul_f32_e32 v0, v15, v3
	v_fmac_f32_e32 v0, v14, v2
	v_cvt_f64_f32_e32 v[0:1], v0
	v_lshl_add_u64 v[10:11], v[10:11], 0, s[2:3]
	v_mul_f64 v[0:1], v[0:1], s[0:1]
	global_store_dwordx2 v[10:11], v[12:13], off
	v_cvt_f32_f64_e32 v12, v[0:1]
	v_mul_f32_e32 v0, v15, v2
	v_fma_f32 v0, v14, v3, -v0
	v_cvt_f64_f32_e32 v[0:1], v0
	v_mul_f64 v[14:15], v[0:1], s[0:1]
	v_add_u32_e32 v0, 0x1000, v128
	ds_read2_b64 v[0:3], v0 offset0:28 offset1:163
	v_cvt_f32_f64_e32 v13, v[14:15]
	v_accvgpr_read_b32 v14, a20
	v_accvgpr_read_b32 v15, a21
	v_lshl_add_u64 v[10:11], v[10:11], 0, s[2:3]
	s_waitcnt lgkmcnt(0)
	v_mul_f32_e32 v4, v15, v1
	v_fmac_f32_e32 v4, v14, v0
	v_mul_f32_e32 v0, v15, v0
	v_fma_f32 v0, v14, v1, -v0
	global_store_dwordx2 v[10:11], v[12:13], off
	v_cvt_f64_f32_e32 v[12:13], v4
	v_cvt_f64_f32_e32 v[0:1], v0
	v_accvgpr_read_b32 v14, a18
	v_mul_f64 v[12:13], v[12:13], s[0:1]
	v_mul_f64 v[0:1], v[0:1], s[0:1]
	v_accvgpr_read_b32 v15, a19
	v_cvt_f32_f64_e32 v12, v[12:13]
	v_cvt_f32_f64_e32 v13, v[0:1]
	v_mul_f32_e32 v0, v15, v3
	v_fmac_f32_e32 v0, v14, v2
	v_cvt_f64_f32_e32 v[0:1], v0
	v_lshl_add_u64 v[10:11], v[10:11], 0, s[2:3]
	v_mul_f64 v[0:1], v[0:1], s[0:1]
	global_store_dwordx2 v[10:11], v[12:13], off
	v_cvt_f32_f64_e32 v12, v[0:1]
	v_mul_f32_e32 v0, v15, v2
	v_fma_f32 v0, v14, v3, -v0
	v_cvt_f64_f32_e32 v[14:15], v0
	v_add_u32_e32 v0, 0x1800, v128
	ds_read2_b64 v[0:3], v0 offset0:42 offset1:177
	v_mul_f64 v[14:15], v[14:15], s[0:1]
	v_cvt_f32_f64_e32 v13, v[14:15]
	v_accvgpr_read_b32 v14, a16
	v_accvgpr_read_b32 v15, a17
	s_waitcnt lgkmcnt(0)
	v_mul_f32_e32 v4, v15, v1
	v_fmac_f32_e32 v4, v14, v0
	v_mul_f32_e32 v0, v15, v0
	v_lshl_add_u64 v[10:11], v[10:11], 0, s[2:3]
	v_fma_f32 v0, v14, v1, -v0
	global_store_dwordx2 v[10:11], v[12:13], off
	v_cvt_f64_f32_e32 v[12:13], v4
	v_cvt_f64_f32_e32 v[0:1], v0
	v_accvgpr_read_b32 v14, a14
	v_mul_f64 v[12:13], v[12:13], s[0:1]
	v_mul_f64 v[0:1], v[0:1], s[0:1]
	v_accvgpr_read_b32 v15, a15
	v_cvt_f32_f64_e32 v12, v[12:13]
	v_cvt_f32_f64_e32 v13, v[0:1]
	v_mul_f32_e32 v0, v15, v3
	v_fmac_f32_e32 v0, v14, v2
	v_cvt_f64_f32_e32 v[0:1], v0
	v_lshl_add_u64 v[10:11], v[10:11], 0, s[2:3]
	v_mul_f64 v[0:1], v[0:1], s[0:1]
	global_store_dwordx2 v[10:11], v[12:13], off
	v_cvt_f32_f64_e32 v12, v[0:1]
	v_mul_f32_e32 v0, v15, v2
	v_fma_f32 v0, v14, v3, -v0
	v_cvt_f64_f32_e32 v[14:15], v0
	v_add_u32_e32 v0, 0x2000, v128
	ds_read2_b64 v[0:3], v0 offset0:56 offset1:191
	v_mul_f64 v[14:15], v[14:15], s[0:1]
	v_cvt_f32_f64_e32 v13, v[14:15]
	v_accvgpr_read_b32 v15, a11
	v_accvgpr_read_b32 v14, a10
	s_waitcnt lgkmcnt(0)
	v_mul_f32_e32 v4, v15, v1
	v_fmac_f32_e32 v4, v14, v0
	v_mul_f32_e32 v0, v15, v0
	v_lshl_add_u64 v[10:11], v[10:11], 0, s[2:3]
	v_fma_f32 v0, v14, v1, -v0
	global_store_dwordx2 v[10:11], v[12:13], off
	v_cvt_f64_f32_e32 v[12:13], v4
	v_cvt_f64_f32_e32 v[0:1], v0
	v_mul_f64 v[12:13], v[12:13], s[0:1]
	v_mul_f64 v[0:1], v[0:1], s[0:1]
	v_accvgpr_read_b32 v15, a7
	v_cvt_f32_f64_e32 v12, v[12:13]
	v_cvt_f32_f64_e32 v13, v[0:1]
	v_accvgpr_read_b32 v14, a6
	v_mul_f32_e32 v0, v15, v3
	v_fmac_f32_e32 v0, v14, v2
	v_cvt_f64_f32_e32 v[0:1], v0
	v_lshl_add_u64 v[10:11], v[10:11], 0, s[2:3]
	v_mul_f64 v[0:1], v[0:1], s[0:1]
	global_store_dwordx2 v[10:11], v[12:13], off
	v_cvt_f32_f64_e32 v12, v[0:1]
	v_mul_f32_e32 v0, v15, v2
	v_fma_f32 v0, v14, v3, -v0
	v_cvt_f64_f32_e32 v[14:15], v0
	ds_read2_b64 v[0:3], v9 offset0:70 offset1:205
	v_mul_f64 v[14:15], v[14:15], s[0:1]
	v_cvt_f32_f64_e32 v13, v[14:15]
	v_accvgpr_read_b32 v15, a9
	v_accvgpr_read_b32 v14, a8
	s_waitcnt lgkmcnt(0)
	v_mul_f32_e32 v4, v15, v1
	v_fmac_f32_e32 v4, v14, v0
	v_mul_f32_e32 v0, v15, v0
	v_lshl_add_u64 v[10:11], v[10:11], 0, s[2:3]
	v_fma_f32 v0, v14, v1, -v0
	global_store_dwordx2 v[10:11], v[12:13], off
	v_cvt_f64_f32_e32 v[12:13], v4
	v_cvt_f64_f32_e32 v[0:1], v0
	v_mul_f64 v[12:13], v[12:13], s[0:1]
	v_mul_f64 v[0:1], v[0:1], s[0:1]
	v_cvt_f32_f64_e32 v12, v[12:13]
	v_cvt_f32_f64_e32 v13, v[0:1]
	v_lshl_add_u64 v[0:1], v[10:11], 0, s[2:3]
	global_store_dwordx2 v[0:1], v[12:13], off
	v_accvgpr_read_b32 v13, a5
	v_accvgpr_read_b32 v12, a4
	v_mul_f32_e32 v4, v13, v3
	v_fmac_f32_e32 v4, v12, v2
	v_mul_f32_e32 v2, v13, v2
	v_fma_f32 v2, v12, v3, -v2
	ds_read_b64 v[12:13], v128 offset:12960
	v_cvt_f64_f32_e32 v[10:11], v4
	v_cvt_f64_f32_e32 v[2:3], v2
	v_mul_f64 v[10:11], v[10:11], s[0:1]
	v_mul_f64 v[2:3], v[2:3], s[0:1]
	v_cvt_f32_f64_e32 v10, v[10:11]
	v_cvt_f32_f64_e32 v11, v[2:3]
	v_lshl_add_u64 v[0:1], v[0:1], 0, s[2:3]
	global_store_dwordx2 v[0:1], v[10:11], off
	v_accvgpr_read_b32 v11, a3
	v_accvgpr_read_b32 v10, a2
	s_waitcnt lgkmcnt(0)
	v_mul_f32_e32 v2, v11, v13
	v_fmac_f32_e32 v2, v10, v12
	v_cvt_f64_f32_e32 v[2:3], v2
	v_mul_f64 v[2:3], v[2:3], s[0:1]
	v_cvt_f32_f64_e32 v2, v[2:3]
	v_mul_f32_e32 v3, v11, v12
	v_fma_f32 v3, v10, v13, -v3
	v_cvt_f64_f32_e32 v[10:11], v3
	v_mul_f64 v[10:11], v[10:11], s[0:1]
	s_movk_i32 s6, 0x2000
	s_movk_i32 s7, 0x1000
	v_cvt_f32_f64_e32 v3, v[10:11]
	v_lshl_add_u64 v[0:1], v[0:1], 0, s[2:3]
	global_store_dwordx2 v[0:1], v[2:3], off
	s_and_b64 exec, exec, vcc
	s_cbranch_execz .LBB0_15
; %bb.14:
	global_load_dwordx2 v[2:3], v[250:251], off offset:936
	ds_read2_b64 v[10:13], v128 offset0:117 offset1:252
	v_mov_b32_e32 v4, 0xffffd108
	v_mad_u64_u32 v[0:1], s[8:9], s4, v4, v[0:1]
	s_mulk_i32 s5, 0xd108
	s_sub_i32 s4, s5, s4
	v_add_u32_e32 v1, s4, v1
	s_movk_i32 s4, 0x3000
	s_waitcnt vmcnt(0) lgkmcnt(0)
	v_mul_f32_e32 v4, v11, v3
	v_mul_f32_e32 v3, v10, v3
	v_fmac_f32_e32 v4, v10, v2
	v_fma_f32 v9, v2, v11, -v3
	v_cvt_f64_f32_e32 v[2:3], v4
	v_cvt_f64_f32_e32 v[10:11], v9
	v_mul_f64 v[2:3], v[2:3], s[0:1]
	v_mul_f64 v[10:11], v[10:11], s[0:1]
	v_cvt_f32_f64_e32 v2, v[2:3]
	v_cvt_f32_f64_e32 v3, v[10:11]
	global_store_dwordx2 v[0:1], v[2:3], off
	global_load_dwordx2 v[2:3], v[250:251], off offset:2016
	v_lshl_add_u64 v[10:11], v[0:1], 0, s[2:3]
	s_waitcnt vmcnt(0)
	v_mul_f32_e32 v0, v13, v3
	v_mul_f32_e32 v1, v12, v3
	v_fmac_f32_e32 v0, v12, v2
	v_fma_f32 v2, v2, v13, -v1
	v_cvt_f64_f32_e32 v[0:1], v0
	v_cvt_f64_f32_e32 v[2:3], v2
	v_mul_f64 v[0:1], v[0:1], s[0:1]
	v_mul_f64 v[2:3], v[2:3], s[0:1]
	v_cvt_f32_f64_e32 v0, v[0:1]
	v_cvt_f32_f64_e32 v1, v[2:3]
	global_store_dwordx2 v[10:11], v[0:1], off
	global_load_dwordx2 v[12:13], v[250:251], off offset:3096
	ds_read2_b64 v[0:3], v8 offset0:3 offset1:138
	v_add_co_u32_e32 v8, vcc, s7, v250
	v_lshl_add_u64 v[10:11], v[10:11], 0, s[2:3]
	s_nop 0
	v_addc_co_u32_e32 v9, vcc, 0, v251, vcc
	s_waitcnt vmcnt(0) lgkmcnt(0)
	v_mul_f32_e32 v4, v1, v13
	v_mul_f32_e32 v13, v0, v13
	v_fmac_f32_e32 v4, v0, v12
	v_fma_f32 v12, v12, v1, -v13
	v_cvt_f64_f32_e32 v[0:1], v4
	v_cvt_f64_f32_e32 v[12:13], v12
	v_mul_f64 v[0:1], v[0:1], s[0:1]
	v_mul_f64 v[12:13], v[12:13], s[0:1]
	v_cvt_f32_f64_e32 v0, v[0:1]
	v_cvt_f32_f64_e32 v1, v[12:13]
	global_store_dwordx2 v[10:11], v[0:1], off
	global_load_dwordx2 v[0:1], v[8:9], off offset:80
	v_lshl_add_u64 v[10:11], v[10:11], 0, s[2:3]
	s_waitcnt vmcnt(0)
	v_mul_f32_e32 v4, v3, v1
	v_mul_f32_e32 v1, v2, v1
	v_fmac_f32_e32 v4, v2, v0
	v_fma_f32 v2, v0, v3, -v1
	v_cvt_f64_f32_e32 v[0:1], v4
	v_cvt_f64_f32_e32 v[2:3], v2
	v_mul_f64 v[0:1], v[0:1], s[0:1]
	v_mul_f64 v[2:3], v[2:3], s[0:1]
	v_cvt_f32_f64_e32 v0, v[0:1]
	v_cvt_f32_f64_e32 v1, v[2:3]
	global_store_dwordx2 v[10:11], v[0:1], off
	global_load_dwordx2 v[12:13], v[8:9], off offset:1160
	ds_read2_b64 v[0:3], v7 offset0:17 offset1:152
	v_lshl_add_u64 v[10:11], v[10:11], 0, s[2:3]
	s_waitcnt vmcnt(0) lgkmcnt(0)
	v_mul_f32_e32 v4, v1, v13
	v_mul_f32_e32 v7, v0, v13
	v_fmac_f32_e32 v4, v0, v12
	v_fma_f32 v7, v12, v1, -v7
	v_cvt_f64_f32_e32 v[0:1], v4
	v_cvt_f64_f32_e32 v[12:13], v7
	v_mul_f64 v[0:1], v[0:1], s[0:1]
	v_mul_f64 v[12:13], v[12:13], s[0:1]
	v_cvt_f32_f64_e32 v0, v[0:1]
	v_cvt_f32_f64_e32 v1, v[12:13]
	global_store_dwordx2 v[10:11], v[0:1], off
	global_load_dwordx2 v[0:1], v[8:9], off offset:2240
	v_lshl_add_u64 v[10:11], v[10:11], 0, s[2:3]
	s_waitcnt vmcnt(0)
	v_mul_f32_e32 v4, v3, v1
	v_mul_f32_e32 v1, v2, v1
	v_fmac_f32_e32 v4, v2, v0
	v_fma_f32 v2, v0, v3, -v1
	v_cvt_f64_f32_e32 v[0:1], v4
	v_cvt_f64_f32_e32 v[2:3], v2
	v_mul_f64 v[0:1], v[0:1], s[0:1]
	v_mul_f64 v[2:3], v[2:3], s[0:1]
	v_cvt_f32_f64_e32 v0, v[0:1]
	v_cvt_f32_f64_e32 v1, v[2:3]
	global_store_dwordx2 v[10:11], v[0:1], off
	global_load_dwordx2 v[8:9], v[8:9], off offset:3320
	ds_read2_b64 v[0:3], v5 offset0:31 offset1:166
	v_add_co_u32_e32 v4, vcc, s6, v250
	v_lshl_add_u64 v[10:11], v[10:11], 0, s[2:3]
	s_nop 0
	v_addc_co_u32_e32 v5, vcc, 0, v251, vcc
	s_waitcnt vmcnt(0) lgkmcnt(0)
	v_mul_f32_e32 v7, v1, v9
	v_mul_f32_e32 v9, v0, v9
	v_fmac_f32_e32 v7, v0, v8
	v_fma_f32 v8, v8, v1, -v9
	v_cvt_f64_f32_e32 v[0:1], v7
	v_cvt_f64_f32_e32 v[8:9], v8
	v_mul_f64 v[0:1], v[0:1], s[0:1]
	v_mul_f64 v[8:9], v[8:9], s[0:1]
	v_cvt_f32_f64_e32 v0, v[0:1]
	v_cvt_f32_f64_e32 v1, v[8:9]
	global_store_dwordx2 v[10:11], v[0:1], off
	global_load_dwordx2 v[0:1], v[4:5], off offset:304
	v_lshl_add_u64 v[8:9], v[10:11], 0, s[2:3]
	s_waitcnt vmcnt(0)
	v_mul_f32_e32 v7, v3, v1
	v_mul_f32_e32 v1, v2, v1
	v_fmac_f32_e32 v7, v2, v0
	v_fma_f32 v2, v0, v3, -v1
	v_cvt_f64_f32_e32 v[0:1], v7
	v_cvt_f64_f32_e32 v[2:3], v2
	v_mul_f64 v[0:1], v[0:1], s[0:1]
	v_mul_f64 v[2:3], v[2:3], s[0:1]
	v_cvt_f32_f64_e32 v0, v[0:1]
	v_cvt_f32_f64_e32 v1, v[2:3]
	global_store_dwordx2 v[8:9], v[0:1], off
	global_load_dwordx2 v[10:11], v[4:5], off offset:1384
	ds_read2_b64 v[0:3], v6 offset0:45 offset1:180
	v_lshl_add_u64 v[6:7], v[8:9], 0, s[2:3]
	s_waitcnt vmcnt(0) lgkmcnt(0)
	v_mul_f32_e32 v8, v1, v11
	v_mul_f32_e32 v9, v0, v11
	v_fmac_f32_e32 v8, v0, v10
	v_fma_f32 v9, v10, v1, -v9
	v_cvt_f64_f32_e32 v[0:1], v8
	v_cvt_f64_f32_e32 v[8:9], v9
	v_mul_f64 v[0:1], v[0:1], s[0:1]
	v_mul_f64 v[8:9], v[8:9], s[0:1]
	v_cvt_f32_f64_e32 v0, v[0:1]
	v_cvt_f32_f64_e32 v1, v[8:9]
	global_store_dwordx2 v[6:7], v[0:1], off
	global_load_dwordx2 v[0:1], v[4:5], off offset:2464
	v_lshl_add_u64 v[6:7], v[6:7], 0, s[2:3]
	s_waitcnt vmcnt(0)
	v_mul_f32_e32 v8, v3, v1
	v_mul_f32_e32 v1, v2, v1
	v_fmac_f32_e32 v8, v2, v0
	v_fma_f32 v2, v0, v3, -v1
	v_cvt_f64_f32_e32 v[0:1], v8
	v_cvt_f64_f32_e32 v[2:3], v2
	v_mul_f64 v[0:1], v[0:1], s[0:1]
	v_mul_f64 v[2:3], v[2:3], s[0:1]
	v_cvt_f32_f64_e32 v0, v[0:1]
	v_cvt_f32_f64_e32 v1, v[2:3]
	global_store_dwordx2 v[6:7], v[0:1], off
	global_load_dwordx2 v[4:5], v[4:5], off offset:3544
	v_add_u32_e32 v0, 0x2c00, v128
	ds_read2_b64 v[0:3], v0 offset0:59 offset1:194
	v_add_co_u32_e32 v8, vcc, s4, v250
	v_lshl_add_u64 v[6:7], v[6:7], 0, s[2:3]
	s_nop 0
	v_addc_co_u32_e32 v9, vcc, 0, v251, vcc
	s_waitcnt vmcnt(0) lgkmcnt(0)
	v_mul_f32_e32 v10, v1, v5
	v_mul_f32_e32 v5, v0, v5
	v_fmac_f32_e32 v10, v0, v4
	v_fma_f32 v4, v4, v1, -v5
	v_cvt_f64_f32_e32 v[0:1], v10
	v_cvt_f64_f32_e32 v[4:5], v4
	v_mul_f64 v[0:1], v[0:1], s[0:1]
	v_mul_f64 v[4:5], v[4:5], s[0:1]
	v_cvt_f32_f64_e32 v0, v[0:1]
	v_cvt_f32_f64_e32 v1, v[4:5]
	global_store_dwordx2 v[6:7], v[0:1], off
	global_load_dwordx2 v[0:1], v[8:9], off offset:528
	v_lshl_add_u64 v[4:5], v[6:7], 0, s[2:3]
	s_waitcnt vmcnt(0)
	v_mul_f32_e32 v6, v3, v1
	v_mul_f32_e32 v1, v2, v1
	v_fmac_f32_e32 v6, v2, v0
	v_fma_f32 v2, v0, v3, -v1
	v_cvt_f64_f32_e32 v[0:1], v6
	v_cvt_f64_f32_e32 v[2:3], v2
	v_mul_f64 v[0:1], v[0:1], s[0:1]
	v_mul_f64 v[2:3], v[2:3], s[0:1]
	v_cvt_f32_f64_e32 v0, v[0:1]
	v_cvt_f32_f64_e32 v1, v[2:3]
	global_store_dwordx2 v[4:5], v[0:1], off
	global_load_dwordx2 v[0:1], v[8:9], off offset:1608
	ds_read_b64 v[2:3], v128 offset:13896
	s_waitcnt vmcnt(0) lgkmcnt(0)
	v_mul_f32_e32 v6, v3, v1
	v_mul_f32_e32 v1, v2, v1
	v_fmac_f32_e32 v6, v2, v0
	v_fma_f32 v2, v0, v3, -v1
	v_cvt_f64_f32_e32 v[0:1], v6
	v_cvt_f64_f32_e32 v[2:3], v2
	v_mul_f64 v[0:1], v[0:1], s[0:1]
	v_mul_f64 v[2:3], v[2:3], s[0:1]
	v_cvt_f32_f64_e32 v0, v[0:1]
	v_cvt_f32_f64_e32 v1, v[2:3]
	v_lshl_add_u64 v[2:3], v[4:5], 0, s[2:3]
	global_store_dwordx2 v[2:3], v[0:1], off
.LBB0_15:
	s_endpgm
	.section	.rodata,"a",@progbits
	.p2align	6, 0x0
	.amdhsa_kernel bluestein_single_fwd_len1755_dim1_sp_op_CI_CI
		.amdhsa_group_segment_fixed_size 14040
		.amdhsa_private_segment_fixed_size 0
		.amdhsa_kernarg_size 104
		.amdhsa_user_sgpr_count 2
		.amdhsa_user_sgpr_dispatch_ptr 0
		.amdhsa_user_sgpr_queue_ptr 0
		.amdhsa_user_sgpr_kernarg_segment_ptr 1
		.amdhsa_user_sgpr_dispatch_id 0
		.amdhsa_user_sgpr_kernarg_preload_length 0
		.amdhsa_user_sgpr_kernarg_preload_offset 0
		.amdhsa_user_sgpr_private_segment_size 0
		.amdhsa_uses_dynamic_stack 0
		.amdhsa_enable_private_segment 0
		.amdhsa_system_sgpr_workgroup_id_x 1
		.amdhsa_system_sgpr_workgroup_id_y 0
		.amdhsa_system_sgpr_workgroup_id_z 0
		.amdhsa_system_sgpr_workgroup_info 0
		.amdhsa_system_vgpr_workitem_id 0
		.amdhsa_next_free_vgpr 338
		.amdhsa_next_free_sgpr 54
		.amdhsa_accum_offset 256
		.amdhsa_reserve_vcc 1
		.amdhsa_float_round_mode_32 0
		.amdhsa_float_round_mode_16_64 0
		.amdhsa_float_denorm_mode_32 3
		.amdhsa_float_denorm_mode_16_64 3
		.amdhsa_dx10_clamp 1
		.amdhsa_ieee_mode 1
		.amdhsa_fp16_overflow 0
		.amdhsa_tg_split 0
		.amdhsa_exception_fp_ieee_invalid_op 0
		.amdhsa_exception_fp_denorm_src 0
		.amdhsa_exception_fp_ieee_div_zero 0
		.amdhsa_exception_fp_ieee_overflow 0
		.amdhsa_exception_fp_ieee_underflow 0
		.amdhsa_exception_fp_ieee_inexact 0
		.amdhsa_exception_int_div_zero 0
	.end_amdhsa_kernel
	.text
.Lfunc_end0:
	.size	bluestein_single_fwd_len1755_dim1_sp_op_CI_CI, .Lfunc_end0-bluestein_single_fwd_len1755_dim1_sp_op_CI_CI
                                        ; -- End function
	.section	.AMDGPU.csdata,"",@progbits
; Kernel info:
; codeLenInByte = 26196
; NumSgprs: 60
; NumVgprs: 256
; NumAgprs: 82
; TotalNumVgprs: 338
; ScratchSize: 0
; MemoryBound: 0
; FloatMode: 240
; IeeeMode: 1
; LDSByteSize: 14040 bytes/workgroup (compile time only)
; SGPRBlocks: 7
; VGPRBlocks: 42
; NumSGPRsForWavesPerEU: 60
; NumVGPRsForWavesPerEU: 338
; AccumOffset: 256
; Occupancy: 1
; WaveLimiterHint : 1
; COMPUTE_PGM_RSRC2:SCRATCH_EN: 0
; COMPUTE_PGM_RSRC2:USER_SGPR: 2
; COMPUTE_PGM_RSRC2:TRAP_HANDLER: 0
; COMPUTE_PGM_RSRC2:TGID_X_EN: 1
; COMPUTE_PGM_RSRC2:TGID_Y_EN: 0
; COMPUTE_PGM_RSRC2:TGID_Z_EN: 0
; COMPUTE_PGM_RSRC2:TIDIG_COMP_CNT: 0
; COMPUTE_PGM_RSRC3_GFX90A:ACCUM_OFFSET: 63
; COMPUTE_PGM_RSRC3_GFX90A:TG_SPLIT: 0
	.text
	.p2alignl 6, 3212836864
	.fill 256, 4, 3212836864
	.type	__hip_cuid_996c89099ee3be82,@object ; @__hip_cuid_996c89099ee3be82
	.section	.bss,"aw",@nobits
	.globl	__hip_cuid_996c89099ee3be82
__hip_cuid_996c89099ee3be82:
	.byte	0                               ; 0x0
	.size	__hip_cuid_996c89099ee3be82, 1

	.ident	"AMD clang version 19.0.0git (https://github.com/RadeonOpenCompute/llvm-project roc-6.4.0 25133 c7fe45cf4b819c5991fe208aaa96edf142730f1d)"
	.section	".note.GNU-stack","",@progbits
	.addrsig
	.addrsig_sym __hip_cuid_996c89099ee3be82
	.amdgpu_metadata
---
amdhsa.kernels:
  - .agpr_count:     82
    .args:
      - .actual_access:  read_only
        .address_space:  global
        .offset:         0
        .size:           8
        .value_kind:     global_buffer
      - .actual_access:  read_only
        .address_space:  global
        .offset:         8
        .size:           8
        .value_kind:     global_buffer
      - .actual_access:  read_only
        .address_space:  global
        .offset:         16
        .size:           8
        .value_kind:     global_buffer
      - .actual_access:  read_only
        .address_space:  global
        .offset:         24
        .size:           8
        .value_kind:     global_buffer
      - .actual_access:  read_only
        .address_space:  global
        .offset:         32
        .size:           8
        .value_kind:     global_buffer
      - .offset:         40
        .size:           8
        .value_kind:     by_value
      - .address_space:  global
        .offset:         48
        .size:           8
        .value_kind:     global_buffer
      - .address_space:  global
        .offset:         56
        .size:           8
        .value_kind:     global_buffer
      - .address_space:  global
        .offset:         64
        .size:           8
        .value_kind:     global_buffer
      - .address_space:  global
        .offset:         72
        .size:           8
        .value_kind:     global_buffer
      - .offset:         80
        .size:           4
        .value_kind:     by_value
      - .address_space:  global
        .offset:         88
        .size:           8
        .value_kind:     global_buffer
      - .address_space:  global
        .offset:         96
        .size:           8
        .value_kind:     global_buffer
    .group_segment_fixed_size: 14040
    .kernarg_segment_align: 8
    .kernarg_segment_size: 104
    .language:       OpenCL C
    .language_version:
      - 2
      - 0
    .max_flat_workgroup_size: 117
    .name:           bluestein_single_fwd_len1755_dim1_sp_op_CI_CI
    .private_segment_fixed_size: 0
    .sgpr_count:     60
    .sgpr_spill_count: 0
    .symbol:         bluestein_single_fwd_len1755_dim1_sp_op_CI_CI.kd
    .uniform_work_group_size: 1
    .uses_dynamic_stack: false
    .vgpr_count:     338
    .vgpr_spill_count: 0
    .wavefront_size: 64
amdhsa.target:   amdgcn-amd-amdhsa--gfx950
amdhsa.version:
  - 1
  - 2
...

	.end_amdgpu_metadata
